;; amdgpu-corpus repo=ROCm/rocFFT kind=compiled arch=gfx1030 opt=O3
	.text
	.amdgcn_target "amdgcn-amd-amdhsa--gfx1030"
	.amdhsa_code_object_version 6
	.protected	bluestein_single_fwd_len686_dim1_dp_op_CI_CI ; -- Begin function bluestein_single_fwd_len686_dim1_dp_op_CI_CI
	.globl	bluestein_single_fwd_len686_dim1_dp_op_CI_CI
	.p2align	8
	.type	bluestein_single_fwd_len686_dim1_dp_op_CI_CI,@function
bluestein_single_fwd_len686_dim1_dp_op_CI_CI: ; @bluestein_single_fwd_len686_dim1_dp_op_CI_CI
; %bb.0:
	s_load_dwordx4 s[16:19], s[4:5], 0x28
	v_mul_u32_u24_e32 v1, 0x53a, v0
	v_mov_b32_e32 v165, 0
	s_mov_b32 s0, exec_lo
	v_lshrrev_b32_e32 v1, 16, v1
	v_add_nc_u32_e32 v164, s6, v1
	s_waitcnt lgkmcnt(0)
	v_cmpx_gt_u64_e64 s[16:17], v[164:165]
	s_cbranch_execz .LBB0_2
; %bb.1:
	s_clause 0x1
	s_load_dwordx4 s[0:3], s[4:5], 0x18
	s_load_dwordx4 s[8:11], s[4:5], 0x0
	v_mul_lo_u16 v1, v1, 49
	s_mov_b32 s16, 0xaaaaaaaa
	s_mov_b32 s22, 0xb247c609
	;; [unrolled: 1-line block ×4, first 2 shown]
	v_sub_nc_u16 v112, v0, v1
	s_mov_b32 s23, 0x3fd5d0dc
	s_mov_b32 s29, 0x3febfeb5
	;; [unrolled: 1-line block ×4, first 2 shown]
	v_and_b32_e32 v188, 0xffff, v112
	v_and_b32_e32 v113, 0xff, v112
	s_mov_b32 s25, 0x3fdc38aa
	s_mov_b32 s24, 0x37c3f68c
	s_load_dwordx2 s[4:5], s[4:5], 0x38
	v_lshlrev_b32_e32 v187, 4, v188
	v_mul_lo_u16 v114, v113, 37
	v_add_co_u32 v113, null, v188, 49
	s_waitcnt lgkmcnt(0)
	s_load_dwordx4 s[12:15], s[0:1], 0x0
	v_add_co_u32 v189, s0, s8, v187
	v_add_co_ci_u32_e64 v190, null, s9, 0, s0
	s_clause 0x2
	global_load_dwordx4 v[4:7], v187, s[8:9] offset:1568
	global_load_dwordx4 v[8:11], v187, s[8:9]
	global_load_dwordx4 v[0:3], v187, s[8:9] offset:784
	v_add_co_u32 v28, vcc_lo, 0x800, v189
	v_add_co_ci_u32_e32 v29, vcc_lo, 0, v190, vcc_lo
	v_add_co_u32 v36, vcc_lo, 0x1000, v189
	v_add_co_ci_u32_e32 v37, vcc_lo, 0, v190, vcc_lo
	;; [unrolled: 2-line block ×3, first 2 shown]
	v_lshrrev_b16 v126, 8, v114
	v_and_b32_e32 v118, 0xff, v113
	s_waitcnt lgkmcnt(0)
	v_mad_u64_u32 v[12:13], null, s14, v164, 0
	v_mad_u64_u32 v[14:15], null, s12, v188, 0
	s_mul_i32 s1, s13, 0x620
	s_mul_hi_u32 s6, s12, 0x620
	s_mul_i32 s0, s12, 0x620
	s_add_i32 s1, s6, s1
	s_mul_i32 s6, s13, 0xffffde50
	v_sub_nc_u16 v122, v112, v126
	v_mad_u64_u32 v[16:17], null, s15, v164, v[13:14]
	s_sub_i32 s6, s6, s12
	v_mul_lo_u16 v127, v118, 37
	v_lshrrev_b16 v128, 1, v122
	s_mov_b32 s15, 0xbfe11646
	s_mov_b32 s14, 0xe976ee23
	;; [unrolled: 1-line block ×3, first 2 shown]
	v_mad_u64_u32 v[17:18], null, s13, v188, v[15:16]
	v_mov_b32_e32 v13, v16
	v_lshrrev_b16 v160, 8, v127
	v_and_b32_e32 v127, 0x7f, v128
	s_mov_b32 s9, 0xbfebfeb5
	s_mov_b32 s28, s8
	v_lshlrev_b64 v[12:13], 4, v[12:13]
	v_mov_b32_e32 v15, v17
	v_add_nc_u16 v162, v127, v126
	v_sub_nc_u16 v161, v113, v160
	v_lshlrev_b64 v[14:15], 4, v[14:15]
	v_add_co_u32 v12, vcc_lo, s18, v12
	v_add_co_ci_u32_e32 v13, vcc_lo, s19, v13, vcc_lo
	s_mov_b32 s18, 0x5476071b
	v_add_co_u32 v40, vcc_lo, v12, v14
	v_add_co_ci_u32_e32 v41, vcc_lo, v13, v15, vcc_lo
	global_load_dwordx4 v[12:15], v[44:45], off offset:1696
	v_add_co_u32 v48, vcc_lo, v40, s0
	v_add_co_ci_u32_e32 v49, vcc_lo, s1, v41, vcc_lo
	v_add_co_u32 v52, vcc_lo, 0x2000, v189
	v_add_co_ci_u32_e32 v53, vcc_lo, 0, v190, vcc_lo
	;; [unrolled: 2-line block ×3, first 2 shown]
	global_load_dwordx4 v[16:19], v[52:53], off offset:1216
	v_add_co_u32 v54, vcc_lo, v50, s0
	v_add_co_ci_u32_e32 v55, vcc_lo, s1, v51, vcc_lo
	s_clause 0x1
	global_load_dwordx4 v[24:27], v[28:29], off offset:1088
	global_load_dwordx4 v[20:23], v[28:29], off offset:304
	v_add_co_u32 v60, vcc_lo, v54, s0
	v_add_co_ci_u32_e32 v61, vcc_lo, s1, v55, vcc_lo
	global_load_dwordx4 v[28:31], v[28:29], off offset:1872
	v_add_co_u32 v64, vcc_lo, v60, s0
	v_add_co_ci_u32_e32 v65, vcc_lo, s1, v61, vcc_lo
	s_clause 0x1
	global_load_dwordx4 v[32:35], v[36:37], off offset:608
	global_load_dwordx4 v[36:39], v[36:37], off offset:1392
	global_load_dwordx4 v[56:59], v[40:41], off
	v_add_co_u32 v72, vcc_lo, v64, s0
	v_add_co_ci_u32_e32 v73, vcc_lo, s1, v65, vcc_lo
	s_clause 0x1
	global_load_dwordx4 v[40:43], v[44:45], off offset:128
	global_load_dwordx4 v[44:47], v[44:45], off offset:912
	s_clause 0x3
	global_load_dwordx4 v[92:95], v[48:49], off
	global_load_dwordx4 v[88:91], v[50:51], off
	;; [unrolled: 1-line block ×4, first 2 shown]
	v_mad_u64_u32 v[76:77], null, 0xffffde50, s12, v[72:73]
	global_load_dwordx4 v[64:67], v[64:65], off
	global_load_dwordx4 v[72:75], v[72:73], off
	s_mov_b32 s12, 0x37e14327
	s_mov_b32 s13, 0x3fe948f6
	;; [unrolled: 1-line block ×4, first 2 shown]
	v_add_nc_u32_e32 v77, s6, v77
	v_add_co_u32 v48, vcc_lo, v76, s0
	s_mov_b32 s6, 0x36b3c0b5
	s_mov_b32 s7, 0x3fac98ee
	v_add_co_ci_u32_e32 v49, vcc_lo, s1, v77, vcc_lo
	v_add_co_u32 v50, vcc_lo, v48, s0
	global_load_dwordx4 v[76:79], v[76:77], off
	v_add_co_ci_u32_e32 v51, vcc_lo, s1, v49, vcc_lo
	v_add_co_u32 v54, vcc_lo, v50, s0
	global_load_dwordx4 v[80:83], v[48:49], off
	;; [unrolled: 3-line block ×4, first 2 shown]
	v_add_co_ci_u32_e32 v105, vcc_lo, s1, v49, vcc_lo
	v_add_co_u32 v108, vcc_lo, v104, s0
	v_add_co_ci_u32_e32 v109, vcc_lo, s1, v105, vcc_lo
	global_load_dwordx4 v[100:103], v[48:49], off
	global_load_dwordx4 v[48:51], v[52:53], off offset:432
	global_load_dwordx4 v[104:107], v[104:105], off
	global_load_dwordx4 v[52:55], v[52:53], off offset:2000
	global_load_dwordx4 v[108:111], v[108:109], off
	s_load_dwordx4 s[0:3], s[2:3], 0x0
	s_waitcnt vmcnt(17)
	v_mul_f64 v[114:115], v[58:59], v[10:11]
	v_mul_f64 v[116:117], v[56:57], v[10:11]
	s_waitcnt vmcnt(13)
	v_mul_f64 v[122:123], v[90:91], v[26:27]
	v_mul_f64 v[118:119], v[94:95], v[6:7]
	v_mul_f64 v[120:121], v[92:93], v[6:7]
	v_mul_f64 v[124:125], v[88:89], v[26:27]
	s_waitcnt vmcnt(12)
	v_mul_f64 v[126:127], v[70:71], v[34:35]
	v_mul_f64 v[128:129], v[68:69], v[34:35]
	s_waitcnt vmcnt(11)
	v_mul_f64 v[130:131], v[62:63], v[42:43]
	v_mul_f64 v[132:133], v[60:61], v[42:43]
	s_waitcnt vmcnt(10)
	v_mul_f64 v[134:135], v[64:65], v[14:15]
	v_fma_f64 v[114:115], v[56:57], v[8:9], v[114:115]
	v_mul_f64 v[56:57], v[66:67], v[14:15]
	v_fma_f64 v[116:117], v[58:59], v[8:9], -v[116:117]
	v_fma_f64 v[88:89], v[88:89], v[24:25], v[122:123]
	v_fma_f64 v[92:93], v[92:93], v[4:5], v[118:119]
	v_fma_f64 v[94:95], v[94:95], v[4:5], -v[120:121]
	s_waitcnt vmcnt(9)
	v_mul_f64 v[118:119], v[74:75], v[18:19]
	v_mul_f64 v[120:121], v[72:73], v[18:19]
	v_fma_f64 v[90:91], v[90:91], v[24:25], -v[124:125]
	s_waitcnt vmcnt(8)
	v_mul_f64 v[122:123], v[78:79], v[2:3]
	v_mul_f64 v[124:125], v[76:77], v[2:3]
	s_waitcnt vmcnt(7)
	v_mul_f64 v[136:137], v[82:83], v[22:23]
	v_mul_f64 v[138:139], v[80:81], v[22:23]
	;; [unrolled: 3-line block ×3, first 2 shown]
	v_fma_f64 v[68:69], v[68:69], v[32:33], v[126:127]
	s_waitcnt vmcnt(5)
	v_mul_f64 v[144:145], v[98:99], v[38:39]
	v_mul_f64 v[146:147], v[96:97], v[38:39]
	v_fma_f64 v[70:71], v[70:71], v[32:33], -v[128:129]
	v_fma_f64 v[58:59], v[60:61], v[40:41], v[130:131]
	s_waitcnt vmcnt(4)
	v_mul_f64 v[148:149], v[102:103], v[46:47]
	v_mul_f64 v[150:151], v[100:101], v[46:47]
	s_waitcnt vmcnt(2)
	v_mul_f64 v[152:153], v[106:107], v[50:51]
	v_mul_f64 v[154:155], v[104:105], v[50:51]
	;; [unrolled: 3-line block ×3, first 2 shown]
	v_fma_f64 v[60:61], v[62:63], v[40:41], -v[132:133]
	v_fma_f64 v[62:63], v[64:65], v[12:13], v[56:57]
	v_fma_f64 v[64:65], v[66:67], v[12:13], -v[134:135]
	v_fma_f64 v[72:73], v[72:73], v[16:17], v[118:119]
	;; [unrolled: 2-line block ×5, first 2 shown]
	v_fma_f64 v[86:87], v[86:87], v[28:29], -v[142:143]
	v_lshrrev_b16 v56, 1, v161
	v_fma_f64 v[96:97], v[96:97], v[36:37], v[144:145]
	v_fma_f64 v[98:99], v[98:99], v[36:37], -v[146:147]
	v_lshrrev_b16 v57, 2, v162
	v_fma_f64 v[100:101], v[100:101], v[44:45], v[148:149]
	v_fma_f64 v[102:103], v[102:103], v[44:45], -v[150:151]
	v_fma_f64 v[104:105], v[104:105], v[48:49], v[152:153]
	v_fma_f64 v[106:107], v[106:107], v[48:49], -v[154:155]
	;; [unrolled: 2-line block ×3, first 2 shown]
	v_and_b32_e32 v56, 0x7f, v56
	v_mul_lo_u16 v118, v57, 7
	ds_write_b128 v187, v[114:117]
	ds_write_b128 v187, v[92:95] offset:1568
	ds_write_b128 v187, v[88:91] offset:3136
	;; [unrolled: 1-line block ×13, first 2 shown]
	s_waitcnt lgkmcnt(0)
	s_barrier
	buffer_gl0_inv
	ds_read_b128 v[59:62], v187 offset:9408
	ds_read_b128 v[63:66], v187 offset:1568
	;; [unrolled: 1-line block ×4, first 2 shown]
	v_add_nc_u16 v56, v56, v160
	v_sub_nc_u16 v83, v112, v118
	ds_read_b128 v[75:78], v187 offset:4704
	ds_read_b128 v[79:82], v187 offset:6272
	v_mov_b32_e32 v156, 4
	v_lshrrev_b16 v58, 2, v56
	v_and_b32_e32 v56, 0xff, v83
	ds_read_b128 v[83:86], v187 offset:2352
	ds_read_b128 v[87:90], v187 offset:10192
	;; [unrolled: 1-line block ×4, first 2 shown]
	ds_read_b128 v[99:102], v187
	ds_read_b128 v[103:106], v187 offset:784
	ds_read_b128 v[107:110], v187 offset:5488
	;; [unrolled: 1-line block ×3, first 2 shown]
	s_waitcnt lgkmcnt(0)
	v_mul_lo_u16 v111, v58, 7
	s_barrier
	buffer_gl0_inv
	v_sub_nc_u16 v157, v113, v111
	v_add_f64 v[118:119], v[63:64], v[59:60]
	v_add_f64 v[120:121], v[65:66], v[61:62]
	;; [unrolled: 1-line block ×4, first 2 shown]
	v_add_f64 v[59:60], v[63:64], -v[59:60]
	v_add_f64 v[61:62], v[65:66], -v[61:62]
	v_add_f64 v[63:64], v[75:76], v[79:80]
	v_add_f64 v[65:66], v[77:78], v[81:82]
	v_add_f64 v[67:68], v[67:68], -v[71:72]
	v_add_f64 v[69:70], v[69:70], -v[73:74]
	;; [unrolled: 1-line block ×4, first 2 shown]
	v_add_f64 v[75:76], v[83:84], v[87:88]
	v_add_f64 v[77:78], v[85:86], v[89:90]
	v_add_f64 v[79:80], v[83:84], -v[87:88]
	v_add_f64 v[81:82], v[91:92], v[95:96]
	v_add_f64 v[83:84], v[93:94], v[97:98]
	v_add_f64 v[85:86], v[85:86], -v[89:90]
	v_add_f64 v[87:88], v[91:92], -v[95:96]
	;; [unrolled: 1-line block ×3, first 2 shown]
	v_add_f64 v[91:92], v[107:108], v[114:115]
	v_add_f64 v[93:94], v[109:110], v[116:117]
	v_add_f64 v[95:96], v[114:115], -v[107:108]
	v_add_f64 v[97:98], v[116:117], -v[109:110]
	v_add_f64 v[107:108], v[122:123], v[118:119]
	v_add_f64 v[109:110], v[124:125], v[120:121]
	v_add_f64 v[114:115], v[122:123], -v[118:119]
	v_add_f64 v[116:117], v[124:125], -v[120:121]
	;; [unrolled: 1-line block ×6, first 2 shown]
	v_add_f64 v[126:127], v[71:72], v[67:68]
	v_add_f64 v[128:129], v[73:74], v[69:70]
	v_add_f64 v[130:131], v[71:72], -v[67:68]
	v_add_f64 v[132:133], v[73:74], -v[69:70]
	;; [unrolled: 1-line block ×3, first 2 shown]
	v_add_f64 v[134:135], v[81:82], v[75:76]
	v_add_f64 v[136:137], v[83:84], v[77:78]
	v_add_f64 v[68:69], v[69:70], -v[61:62]
	v_add_f64 v[140:141], v[81:82], -v[75:76]
	;; [unrolled: 1-line block ×7, first 2 shown]
	v_add_f64 v[107:108], v[63:64], v[107:108]
	v_add_f64 v[109:110], v[65:66], v[109:110]
	;; [unrolled: 1-line block ×4, first 2 shown]
	v_add_f64 v[148:149], v[95:96], -v[87:88]
	v_add_f64 v[150:151], v[97:98], -v[89:90]
	;; [unrolled: 1-line block ×6, first 2 shown]
	v_add_f64 v[126:127], v[126:127], v[59:60]
	v_add_f64 v[128:129], v[128:129], v[61:62]
	v_mul_f64 v[118:119], v[118:119], s[12:13]
	v_add_f64 v[91:92], v[91:92], v[134:135]
	v_add_f64 v[93:94], v[93:94], v[136:137]
	v_mul_f64 v[120:121], v[120:121], s[12:13]
	v_mul_f64 v[134:135], v[122:123], s[6:7]
	;; [unrolled: 1-line block ×7, first 2 shown]
	v_add_f64 v[60:61], v[99:100], v[107:108]
	v_add_f64 v[62:63], v[101:102], v[109:110]
	v_add_f64 v[95:96], v[79:80], -v[95:96]
	v_add_f64 v[97:98], v[85:86], -v[97:98]
	v_add_f64 v[79:80], v[144:145], v[79:80]
	v_add_f64 v[85:86], v[146:147], v[85:86]
	v_mul_f64 v[75:76], v[75:76], s[12:13]
	v_mul_f64 v[77:78], v[77:78], s[12:13]
	;; [unrolled: 1-line block ×7, first 2 shown]
	v_add_f64 v[64:65], v[103:104], v[91:92]
	v_add_f64 v[66:67], v[105:106], v[93:94]
	v_mul_f64 v[101:102], v[83:84], s[6:7]
	v_fma_f64 v[103:104], v[122:123], s[6:7], v[118:119]
	v_fma_f64 v[105:106], v[124:125], s[6:7], v[120:121]
	v_fma_f64 v[122:123], v[114:115], s[18:19], -v[134:135]
	v_fma_f64 v[124:125], v[116:117], s[18:19], -v[136:137]
	;; [unrolled: 1-line block ×4, first 2 shown]
	v_fma_f64 v[118:119], v[71:72], s[22:23], v[130:131]
	v_fma_f64 v[120:121], v[73:74], s[22:23], v[132:133]
	;; [unrolled: 1-line block ×4, first 2 shown]
	v_fma_f64 v[130:131], v[138:139], s[28:29], -v[130:131]
	v_fma_f64 v[68:69], v[68:69], s[28:29], -v[132:133]
	v_fma_f64 v[70:71], v[71:72], s[26:27], v[152:153]
	v_fma_f64 v[72:73], v[73:74], s[26:27], v[154:155]
	;; [unrolled: 1-line block ×10, first 2 shown]
	v_fma_f64 v[74:75], v[140:141], s[20:21], -v[75:76]
	v_fma_f64 v[76:77], v[142:143], s[20:21], -v[77:78]
	;; [unrolled: 1-line block ×6, first 2 shown]
	v_fma_f64 v[118:119], v[126:127], s[24:25], v[118:119]
	v_fma_f64 v[120:121], v[128:129], s[24:25], v[120:121]
	v_add_f64 v[103:104], v[103:104], v[107:108]
	v_add_f64 v[105:106], v[105:106], v[109:110]
	v_fma_f64 v[130:131], v[126:127], s[24:25], v[130:131]
	v_fma_f64 v[136:137], v[128:129], s[24:25], v[68:69]
	;; [unrolled: 1-line block ×4, first 2 shown]
	v_add_f64 v[114:115], v[114:115], v[107:108]
	v_add_f64 v[116:117], v[116:117], v[109:110]
	;; [unrolled: 1-line block ×4, first 2 shown]
	v_fma_f64 v[122:123], v[79:80], s[24:25], v[132:133]
	v_fma_f64 v[124:125], v[85:86], s[24:25], v[134:135]
	v_add_f64 v[142:143], v[81:82], v[91:92]
	v_add_f64 v[144:145], v[83:84], v[93:94]
	v_fma_f64 v[138:139], v[79:80], s[24:25], v[95:96]
	v_fma_f64 v[140:141], v[85:86], s[24:25], v[97:98]
	v_add_f64 v[146:147], v[74:75], v[91:92]
	v_add_f64 v[148:149], v[76:77], v[93:94]
	;; [unrolled: 4-line block ×3, first 2 shown]
	v_add_f64 v[68:69], v[103:104], v[120:121]
	v_add_f64 v[70:71], v[105:106], -v[118:119]
	v_add_f64 v[88:89], v[103:104], -v[120:121]
	v_add_f64 v[90:91], v[118:119], v[105:106]
	v_mul_lo_u16 v59, v112, 7
	v_mul_u32_u24_e32 v154, 7, v113
	v_add_f64 v[72:73], v[114:115], v[128:129]
	v_add_f64 v[74:75], v[116:117], -v[126:127]
	v_add_f64 v[76:77], v[107:108], -v[136:137]
	v_add_f64 v[78:79], v[130:131], v[109:110]
	v_add_f64 v[80:81], v[107:108], v[136:137]
	v_add_f64 v[82:83], v[109:110], -v[130:131]
	v_add_f64 v[84:85], v[114:115], -v[128:129]
	v_add_f64 v[86:87], v[126:127], v[116:117]
	v_add_f64 v[92:93], v[142:143], v[124:125]
	v_add_f64 v[94:95], v[144:145], -v[122:123]
	v_add_f64 v[96:97], v[146:147], v[140:141]
	v_add_f64 v[98:99], v[148:149], -v[138:139]
	v_add_f64 v[108:109], v[146:147], -v[140:141]
	v_add_f64 v[110:111], v[138:139], v[148:149]
	v_add_f64 v[100:101], v[150:151], -v[134:135]
	v_add_f64 v[102:103], v[132:133], v[152:153]
	v_add_f64 v[104:105], v[150:151], v[134:135]
	v_add_f64 v[106:107], v[152:153], -v[132:133]
	v_add_f64 v[112:113], v[142:143], -v[124:125]
	v_add_f64 v[114:115], v[122:123], v[144:145]
	v_mul_u32_u24_e32 v155, 6, v56
	v_lshlrev_b32_sdwa v194, v156, v59 dst_sel:DWORD dst_unused:UNUSED_PAD src0_sel:DWORD src1_sel:WORD_0
	v_and_b32_e32 v59, 0xff, v157
	v_lshlrev_b32_e32 v193, 4, v154
	ds_write_b128 v194, v[60:63]
	ds_write_b128 v194, v[68:71] offset:16
	ds_write_b128 v194, v[72:75] offset:32
	;; [unrolled: 1-line block ×6, first 2 shown]
	ds_write_b128 v193, v[64:67]
	ds_write_b128 v193, v[92:95] offset:16
	ds_write_b128 v193, v[96:99] offset:32
	;; [unrolled: 1-line block ×6, first 2 shown]
	v_lshlrev_b32_e32 v116, 4, v155
	v_mul_u32_u24_e32 v60, 6, v59
	s_waitcnt lgkmcnt(0)
	s_barrier
	buffer_gl0_inv
	s_clause 0x3
	global_load_dwordx4 v[128:131], v116, s[10:11]
	global_load_dwordx4 v[120:123], v116, s[10:11] offset:16
	global_load_dwordx4 v[112:115], v116, s[10:11] offset:32
	;; [unrolled: 1-line block ×3, first 2 shown]
	v_lshlrev_b32_e32 v60, 4, v60
	s_clause 0x7
	global_load_dwordx4 v[124:127], v116, s[10:11] offset:64
	global_load_dwordx4 v[116:119], v116, s[10:11] offset:80
	global_load_dwordx4 v[136:139], v60, s[10:11]
	global_load_dwordx4 v[132:135], v60, s[10:11] offset:16
	global_load_dwordx4 v[148:151], v60, s[10:11] offset:80
	;; [unrolled: 1-line block ×5, first 2 shown]
	ds_read_b128 v[60:63], v187 offset:1568
	ds_read_b128 v[64:67], v187 offset:3136
	;; [unrolled: 1-line block ×12, first 2 shown]
	s_waitcnt vmcnt(7) lgkmcnt(7)
	v_mul_f64 v[173:174], v[78:79], v[126:127]
	v_mul_f64 v[160:161], v[66:67], v[122:123]
	v_mul_f64 v[156:157], v[62:63], v[130:131]
	v_mul_f64 v[158:159], v[60:61], v[130:131]
	v_mul_f64 v[162:163], v[64:65], v[122:123]
	v_mul_f64 v[175:176], v[76:77], v[126:127]
	s_waitcnt vmcnt(6) lgkmcnt(6)
	v_mul_f64 v[177:178], v[82:83], v[118:119]
	v_mul_f64 v[179:180], v[80:81], v[118:119]
	s_waitcnt vmcnt(5) lgkmcnt(5)
	v_mul_f64 v[181:182], v[86:87], v[138:139]
	v_mul_f64 v[183:184], v[84:85], v[138:139]
	;; [unrolled: 3-line block ×3, first 2 shown]
	s_waitcnt vmcnt(3) lgkmcnt(3)
	v_mul_f64 v[195:196], v[94:95], v[150:151]
	s_waitcnt vmcnt(2) lgkmcnt(2)
	v_mul_f64 v[197:198], v[98:99], v[154:155]
	v_mul_f64 v[199:200], v[92:93], v[150:151]
	v_mul_f64 v[201:202], v[96:97], v[154:155]
	v_mul_f64 v[165:166], v[70:71], v[114:115]
	v_mul_f64 v[167:168], v[68:69], v[114:115]
	v_mul_f64 v[169:170], v[74:75], v[110:111]
	v_mul_f64 v[171:172], v[72:73], v[110:111]
	s_waitcnt vmcnt(1) lgkmcnt(1)
	v_mul_f64 v[203:204], v[102:103], v[146:147]
	s_waitcnt vmcnt(0) lgkmcnt(0)
	v_mul_f64 v[207:208], v[106:107], v[142:143]
	v_fma_f64 v[76:77], v[76:77], v[124:125], -v[173:174]
	v_fma_f64 v[160:161], v[64:65], v[120:121], -v[160:161]
	;; [unrolled: 1-line block ×3, first 2 shown]
	v_fma_f64 v[158:159], v[62:63], v[128:129], v[158:159]
	v_fma_f64 v[162:163], v[66:67], v[120:121], v[162:163]
	;; [unrolled: 1-line block ×3, first 2 shown]
	v_fma_f64 v[80:81], v[80:81], v[116:117], -v[177:178]
	v_fma_f64 v[82:83], v[82:83], v[116:117], v[179:180]
	v_mul_f64 v[205:206], v[100:101], v[146:147]
	v_mul_f64 v[209:210], v[104:105], v[142:143]
	v_fma_f64 v[84:85], v[84:85], v[136:137], -v[181:182]
	v_fma_f64 v[86:87], v[86:87], v[136:137], v[183:184]
	v_fma_f64 v[88:89], v[88:89], v[132:133], -v[185:186]
	v_fma_f64 v[90:91], v[90:91], v[132:133], v[191:192]
	v_fma_f64 v[92:93], v[92:93], v[148:149], -v[195:196]
	v_fma_f64 v[96:97], v[96:97], v[152:153], -v[197:198]
	v_fma_f64 v[94:95], v[94:95], v[148:149], v[199:200]
	v_fma_f64 v[98:99], v[98:99], v[152:153], v[201:202]
	v_fma_f64 v[68:69], v[68:69], v[112:113], -v[165:166]
	v_fma_f64 v[70:71], v[70:71], v[112:113], v[167:168]
	v_fma_f64 v[72:73], v[72:73], v[108:109], -v[169:170]
	;; [unrolled: 2-line block ×3, first 2 shown]
	v_fma_f64 v[104:105], v[104:105], v[140:141], -v[207:208]
	v_add_f64 v[167:168], v[160:161], v[76:77]
	v_add_f64 v[76:77], v[160:161], -v[76:77]
	ds_read_b128 v[60:63], v187
	ds_read_b128 v[64:67], v187 offset:784
	v_add_f64 v[171:172], v[162:163], v[78:79]
	v_add_f64 v[165:166], v[156:157], v[80:81]
	;; [unrolled: 1-line block ×3, first 2 shown]
	v_fma_f64 v[102:103], v[102:103], v[144:145], v[205:206]
	v_fma_f64 v[106:107], v[106:107], v[140:141], v[209:210]
	v_add_f64 v[78:79], v[162:163], -v[78:79]
	v_mov_b32_e32 v203, 49
	s_waitcnt lgkmcnt(0)
	s_barrier
	v_add_f64 v[173:174], v[84:85], v[92:93]
	v_add_f64 v[175:176], v[88:89], v[96:97]
	;; [unrolled: 1-line block ×4, first 2 shown]
	v_add_f64 v[84:85], v[84:85], -v[92:93]
	v_add_f64 v[86:87], v[86:87], -v[94:95]
	v_add_f64 v[181:182], v[68:69], v[72:73]
	v_add_f64 v[183:184], v[70:71], v[74:75]
	v_add_f64 v[68:69], v[72:73], -v[68:69]
	v_add_f64 v[185:186], v[100:101], v[104:105]
	v_add_f64 v[72:73], v[156:157], -v[80:81]
	v_add_f64 v[70:71], v[74:75], -v[70:71]
	;; [unrolled: 1-line block ×5, first 2 shown]
	v_add_f64 v[92:93], v[167:168], v[165:166]
	v_add_f64 v[94:95], v[171:172], v[169:170]
	;; [unrolled: 1-line block ×3, first 2 shown]
	v_add_f64 v[88:89], v[90:91], -v[98:99]
	v_add_f64 v[90:91], v[106:107], -v[102:103]
	;; [unrolled: 1-line block ×4, first 2 shown]
	v_mul_u32_u24_sdwa v57, v57, v203 dst_sel:DWORD dst_unused:UNUSED_PAD src0_sel:WORD_0 src1_sel:DWORD
	v_add_f64 v[96:97], v[175:176], v[173:174]
	v_add_f64 v[160:161], v[175:176], -v[173:174]
	v_add_f64 v[98:99], v[179:180], v[177:178]
	v_mul_u32_u24_sdwa v58, v58, v203 dst_sel:DWORD dst_unused:UNUSED_PAD src0_sel:WORD_0 src1_sel:DWORD
	buffer_gl0_inv
	v_add_f64 v[102:103], v[181:182], -v[167:168]
	v_add_f64 v[104:105], v[165:166], -v[181:182]
	;; [unrolled: 1-line block ×6, first 2 shown]
	v_add_f64 v[169:170], v[68:69], v[76:77]
	v_add_f64 v[171:172], v[70:71], v[78:79]
	v_add_f64 v[173:174], v[68:69], -v[76:77]
	v_add_f64 v[76:77], v[76:77], -v[72:73]
	v_add_f64 v[175:176], v[82:83], v[80:81]
	v_add_f64 v[195:196], v[70:71], -v[78:79]
	v_add_f64 v[78:79], v[78:79], -v[74:75]
	v_add_f64 v[92:93], v[181:182], v[92:93]
	v_add_f64 v[94:95], v[183:184], v[94:95]
	v_add_f64 v[167:168], v[179:180], -v[177:178]
	v_add_f64 v[197:198], v[90:91], v[88:89]
	v_add_f64 v[179:180], v[191:192], -v[179:180]
	v_add_f64 v[177:178], v[177:178], -v[191:192]
	;; [unrolled: 1-line block ×6, first 2 shown]
	v_add_f64 v[96:97], v[185:186], v[96:97]
	v_add_f64 v[98:99], v[191:192], v[98:99]
	v_add_f64 v[68:69], v[72:73], -v[68:69]
	v_add_f64 v[70:71], v[74:75], -v[70:71]
	;; [unrolled: 1-line block ×3, first 2 shown]
	v_add_f64 v[72:73], v[169:170], v[72:73]
	v_add_f64 v[74:75], v[171:172], v[74:75]
	v_mul_f64 v[169:170], v[173:174], s[14:15]
	v_mul_f64 v[171:172], v[76:77], s[8:9]
	v_add_f64 v[84:85], v[175:176], v[84:85]
	v_mul_f64 v[173:174], v[195:196], s[14:15]
	v_mul_f64 v[175:176], v[78:79], s[8:9]
	;; [unrolled: 1-line block ×6, first 2 shown]
	v_add_f64 v[60:61], v[60:61], v[92:93]
	v_add_f64 v[62:63], v[62:63], v[94:95]
	v_add_f64 v[90:91], v[86:87], -v[90:91]
	v_add_f64 v[86:87], v[197:198], v[86:87]
	v_mul_f64 v[181:182], v[181:182], s[14:15]
	v_mul_f64 v[195:196], v[80:81], s[8:9]
	;; [unrolled: 1-line block ×8, first 2 shown]
	v_add_f64 v[64:65], v[64:65], v[96:97]
	v_add_f64 v[66:67], v[66:67], v[98:99]
	v_fma_f64 v[76:77], v[76:77], s[28:29], -v[169:170]
	v_fma_f64 v[171:172], v[68:69], s[26:27], v[171:172]
	v_fma_f64 v[68:69], v[68:69], s[22:23], v[169:170]
	v_fma_f64 v[78:79], v[78:79], s[28:29], -v[173:174]
	v_fma_f64 v[169:170], v[70:71], s[26:27], v[175:176]
	v_fma_f64 v[70:71], v[70:71], s[22:23], v[173:174]
	v_fma_f64 v[173:174], v[100:101], s[18:19], -v[185:186]
	v_fma_f64 v[100:101], v[100:101], s[20:21], -v[104:105]
	v_fma_f64 v[102:103], v[102:103], s[6:7], v[104:105]
	v_fma_f64 v[104:105], v[106:107], s[18:19], -v[191:192]
	v_fma_f64 v[92:93], v[92:93], s[16:17], v[60:61]
	v_fma_f64 v[94:95], v[94:95], s[16:17], v[62:63]
	v_fma_f64 v[106:107], v[106:107], s[20:21], -v[158:159]
	v_fma_f64 v[156:157], v[156:157], s[6:7], v[158:159]
	v_fma_f64 v[80:81], v[80:81], s[28:29], -v[181:182]
	v_fma_f64 v[158:159], v[82:83], s[26:27], v[195:196]
	v_fma_f64 v[82:83], v[82:83], s[22:23], v[181:182]
	v_fma_f64 v[88:89], v[88:89], s[28:29], -v[183:184]
	v_fma_f64 v[175:176], v[90:91], s[26:27], v[197:198]
	v_fma_f64 v[90:91], v[90:91], s[22:23], v[183:184]
	v_fma_f64 v[181:182], v[160:161], s[18:19], -v[199:200]
	v_fma_f64 v[183:184], v[167:168], s[18:19], -v[201:202]
	v_fma_f64 v[96:97], v[96:97], s[16:17], v[64:65]
	v_fma_f64 v[98:99], v[98:99], s[16:17], v[66:67]
	v_fma_f64 v[160:161], v[160:161], s[20:21], -v[165:166]
	v_fma_f64 v[162:163], v[162:163], s[6:7], v[165:166]
	v_fma_f64 v[165:166], v[167:168], s[20:21], -v[177:178]
	v_fma_f64 v[167:168], v[179:180], s[6:7], v[177:178]
	v_fma_f64 v[76:77], v[72:73], s[24:25], v[76:77]
	;; [unrolled: 1-line block ×5, first 2 shown]
	v_add_f64 v[78:79], v[173:174], v[92:93]
	v_add_f64 v[104:105], v[104:105], v[94:95]
	v_fma_f64 v[173:174], v[74:75], s[24:25], v[70:71]
	v_add_f64 v[100:101], v[100:101], v[92:93]
	v_add_f64 v[106:107], v[106:107], v[94:95]
	;; [unrolled: 1-line block ×4, first 2 shown]
	v_fma_f64 v[169:170], v[74:75], s[24:25], v[169:170]
	v_fma_f64 v[179:180], v[84:85], s[24:25], v[80:81]
	;; [unrolled: 1-line block ×5, first 2 shown]
	v_add_f64 v[102:103], v[181:182], v[96:97]
	v_add_f64 v[156:157], v[183:184], v[98:99]
	v_fma_f64 v[181:182], v[84:85], s[24:25], v[82:83]
	v_fma_f64 v[183:184], v[86:87], s[24:25], v[90:91]
	v_add_f64 v[191:192], v[162:163], v[96:97]
	v_add_f64 v[167:168], v[167:168], v[98:99]
	;; [unrolled: 1-line block ×4, first 2 shown]
	v_add_f64 v[68:69], v[78:79], -v[72:73]
	v_add_f64 v[70:71], v[76:77], v[104:105]
	v_add_f64 v[72:73], v[72:73], v[78:79]
	v_add_f64 v[74:75], v[104:105], -v[76:77]
	v_add_f64 v[78:79], v[106:107], -v[171:172]
	v_add_f64 v[84:85], v[173:174], v[92:93]
	v_add_f64 v[86:87], v[94:95], -v[177:178]
	v_add_f64 v[76:77], v[169:170], v[100:101]
	;; [unrolled: 2-line block ×6, first 2 shown]
	v_add_f64 v[156:157], v[183:184], v[191:192]
	v_add_f64 v[158:159], v[167:168], -v[181:182]
	v_add_f64 v[102:103], v[175:176], v[160:161]
	v_add_f64 v[104:105], v[162:163], -v[185:186]
	v_add_f64 v[160:161], v[160:161], -v[175:176]
	v_add_f64 v[162:163], v[185:186], v[162:163]
	v_add_f64 v[165:166], v[191:192], -v[183:184]
	v_add_f64 v[167:168], v[181:182], v[167:168]
	v_mad_u64_u32 v[88:89], null, 0x60, v188, s[10:11]
	v_add_lshl_u32 v192, v57, v56, 4
	v_add_lshl_u32 v191, v58, v59, 4
	ds_write_b128 v192, v[60:63]
	ds_write_b128 v192, v[84:87] offset:112
	ds_write_b128 v192, v[76:79] offset:224
	;; [unrolled: 1-line block ×6, first 2 shown]
	ds_write_b128 v191, v[64:67]
	ds_write_b128 v191, v[156:159] offset:112
	ds_write_b128 v191, v[102:105] offset:224
	;; [unrolled: 1-line block ×6, first 2 shown]
	s_waitcnt lgkmcnt(0)
	s_barrier
	buffer_gl0_inv
	s_clause 0x5
	global_load_dwordx4 v[64:67], v[88:89], off offset:672
	global_load_dwordx4 v[60:63], v[88:89], off offset:688
	;; [unrolled: 1-line block ×6, first 2 shown]
	ds_read_b128 v[90:93], v187 offset:1568
	ds_read_b128 v[96:99], v187 offset:3136
	;; [unrolled: 1-line block ×12, first 2 shown]
	s_mul_i32 s10, s1, 0x620
	s_waitcnt vmcnt(5) lgkmcnt(11)
	v_mul_f64 v[94:95], v[92:93], v[66:67]
	v_mul_f64 v[104:105], v[90:91], v[66:67]
	s_waitcnt vmcnt(4) lgkmcnt(10)
	v_mul_f64 v[106:107], v[98:99], v[62:63]
	v_mul_f64 v[160:161], v[96:97], v[62:63]
	s_waitcnt vmcnt(3) lgkmcnt(9)
	v_mul_f64 v[165:166], v[100:101], v[58:59]
	s_waitcnt vmcnt(1) lgkmcnt(7)
	v_mul_f64 v[171:172], v[158:159], v[74:75]
	v_mul_f64 v[173:174], v[156:157], v[74:75]
	s_waitcnt vmcnt(0) lgkmcnt(6)
	v_mul_f64 v[215:216], v[169:170], v[78:79]
	v_mul_f64 v[217:218], v[167:168], v[78:79]
	;; [unrolled: 1-line block ×3, first 2 shown]
	s_waitcnt lgkmcnt(5)
	v_mul_f64 v[219:220], v[185:186], v[66:67]
	v_mul_f64 v[221:222], v[183:184], v[66:67]
	s_waitcnt lgkmcnt(4)
	v_mul_f64 v[223:224], v[201:202], v[62:63]
	v_mul_f64 v[225:226], v[199:200], v[62:63]
	s_waitcnt lgkmcnt(3)
	v_mul_f64 v[227:228], v[205:206], v[78:79]
	s_waitcnt lgkmcnt(2)
	v_mul_f64 v[229:230], v[209:210], v[74:75]
	v_mul_f64 v[231:232], v[203:204], v[78:79]
	;; [unrolled: 1-line block ×5, first 2 shown]
	s_waitcnt lgkmcnt(1)
	v_mul_f64 v[175:176], v[86:87], v[58:59]
	v_mul_f64 v[177:178], v[84:85], v[58:59]
	v_fma_f64 v[94:95], v[90:91], v[64:65], -v[94:95]
	v_fma_f64 v[90:91], v[92:93], v[64:65], v[104:105]
	v_fma_f64 v[106:107], v[96:97], v[60:61], -v[106:107]
	v_fma_f64 v[98:99], v[98:99], v[60:61], v[160:161]
	v_fma_f64 v[102:103], v[102:103], v[56:57], v[165:166]
	v_fma_f64 v[171:172], v[156:157], v[72:73], -v[171:172]
	v_fma_f64 v[165:166], v[158:159], v[72:73], v[173:174]
	v_fma_f64 v[173:174], v[167:168], v[76:77], -v[215:216]
	v_fma_f64 v[156:157], v[169:170], v[76:77], v[217:218]
	s_waitcnt lgkmcnt(0)
	v_mul_f64 v[179:180], v[82:83], v[70:71]
	v_mul_f64 v[181:182], v[80:81], v[70:71]
	v_fma_f64 v[162:163], v[100:101], v[56:57], -v[162:163]
	v_fma_f64 v[96:97], v[183:184], v[64:65], -v[219:220]
	v_fma_f64 v[92:93], v[185:186], v[64:65], v[221:222]
	v_fma_f64 v[158:159], v[199:200], v[60:61], -v[223:224]
	v_fma_f64 v[100:101], v[201:202], v[60:61], v[225:226]
	v_fma_f64 v[160:161], v[203:204], v[76:77], -v[227:228]
	v_fma_f64 v[169:170], v[207:208], v[72:73], -v[229:230]
	v_fma_f64 v[104:105], v[205:206], v[76:77], v[231:232]
	v_fma_f64 v[167:168], v[209:210], v[72:73], v[233:234]
	v_fma_f64 v[185:186], v[195:196], v[68:69], -v[211:212]
	v_mul_i32_i24_e32 v195, 0xffffffb0, v188
	v_mul_hi_i32_i24_e32 v196, 0xffffffb0, v188
	v_fma_f64 v[183:184], v[197:198], v[68:69], v[213:214]
	v_fma_f64 v[175:176], v[84:85], v[56:57], -v[175:176]
	v_fma_f64 v[177:178], v[86:87], v[56:57], v[177:178]
	v_add_co_u32 v225, vcc_lo, v88, v195
	v_add_co_ci_u32_e32 v226, vcc_lo, v89, v196, vcc_lo
	v_add_f64 v[88:89], v[94:95], v[173:174]
	v_add_f64 v[195:196], v[106:107], v[171:172]
	;; [unrolled: 1-line block ×4, first 2 shown]
	v_fma_f64 v[179:180], v[80:81], v[68:69], -v[179:180]
	v_fma_f64 v[181:182], v[82:83], v[68:69], v[181:182]
	v_add_f64 v[106:107], v[106:107], -v[171:172]
	v_add_f64 v[94:95], v[94:95], -v[173:174]
	v_add_f64 v[201:202], v[96:97], v[160:161]
	v_add_f64 v[203:204], v[158:159], v[169:170]
	;; [unrolled: 1-line block ×5, first 2 shown]
	v_add_f64 v[162:163], v[185:186], -v[162:163]
	v_add_f64 v[98:99], v[98:99], -v[165:166]
	v_add_f64 v[211:212], v[102:103], v[183:184]
	v_add_f64 v[102:103], v[183:184], -v[102:103]
	v_add_f64 v[90:91], v[90:91], -v[156:157]
	;; [unrolled: 1-line block ×6, first 2 shown]
	ds_read_b128 v[80:83], v187
	ds_read_b128 v[84:87], v187 offset:784
	v_add_f64 v[104:105], v[195:196], v[88:89]
	s_waitcnt lgkmcnt(0)
	v_add_f64 v[167:168], v[199:200], v[197:198]
	v_add_f64 v[156:157], v[175:176], v[179:180]
	;; [unrolled: 1-line block ×3, first 2 shown]
	v_add_f64 v[169:170], v[179:180], -v[175:176]
	v_add_f64 v[160:161], v[181:182], -v[177:178]
	;; [unrolled: 1-line block ×3, first 2 shown]
	v_add_f64 v[171:172], v[203:204], v[201:202]
	v_add_f64 v[179:180], v[199:200], -v[197:198]
	v_add_f64 v[173:174], v[207:208], v[205:206]
	v_add_f64 v[177:178], v[209:210], -v[195:196]
	;; [unrolled: 2-line block ×3, first 2 shown]
	v_add_f64 v[181:182], v[211:212], -v[199:200]
	v_add_f64 v[106:107], v[106:107], -v[94:95]
	v_add_f64 v[195:196], v[102:103], v[98:99]
	v_add_f64 v[199:200], v[102:103], -v[98:99]
	v_add_f64 v[98:99], v[98:99], -v[90:91]
	;; [unrolled: 1-line block ×5, first 2 shown]
	v_add_f64 v[104:105], v[209:210], v[104:105]
	v_add_f64 v[215:216], v[207:208], -v[205:206]
	v_add_f64 v[167:168], v[211:212], v[167:168]
	v_add_f64 v[203:204], v[156:157], -v[203:204]
	v_add_f64 v[207:208], v[165:166], -v[207:208]
	v_add_f64 v[217:218], v[169:170], v[158:159]
	v_add_f64 v[219:220], v[169:170], -v[158:159]
	;; [unrolled: 3-line block ×3, first 2 shown]
	v_add_f64 v[100:101], v[100:101], -v[92:93]
	v_add_f64 v[201:202], v[201:202], -v[156:157]
	;; [unrolled: 1-line block ×3, first 2 shown]
	v_add_f64 v[156:157], v[156:157], v[171:172]
	v_add_f64 v[165:166], v[165:166], v[173:174]
	v_add_f64 v[162:163], v[94:95], -v[162:163]
	v_add_f64 v[102:103], v[90:91], -v[102:103]
	v_add_f64 v[94:95], v[183:184], v[94:95]
	v_add_f64 v[90:91], v[195:196], v[90:91]
	v_mul_f64 v[171:172], v[177:178], s[6:7]
	v_mul_f64 v[173:174], v[181:182], s[6:7]
	;; [unrolled: 1-line block ×8, first 2 shown]
	v_add_f64 v[80:81], v[80:81], v[104:105]
	v_add_f64 v[82:83], v[82:83], v[167:168]
	v_add_f64 v[169:170], v[96:97], -v[169:170]
	v_add_f64 v[160:161], v[92:93], -v[160:161]
	v_add_f64 v[96:97], v[217:218], v[96:97]
	v_add_f64 v[92:93], v[209:210], v[92:93]
	v_mul_f64 v[209:210], v[219:220], s[14:15]
	v_mul_f64 v[211:212], v[211:212], s[14:15]
	;; [unrolled: 1-line block ×8, first 2 shown]
	v_add_f64 v[84:85], v[84:85], v[156:157]
	v_add_f64 v[86:87], v[86:87], v[165:166]
	v_fma_f64 v[171:172], v[175:176], s[18:19], -v[171:172]
	v_fma_f64 v[173:174], v[179:180], s[18:19], -v[173:174]
	;; [unrolled: 1-line block ×3, first 2 shown]
	v_fma_f64 v[195:196], v[162:163], s[26:27], v[195:196]
	v_fma_f64 v[199:200], v[102:103], s[26:27], v[199:200]
	v_fma_f64 v[175:176], v[175:176], s[20:21], -v[88:89]
	v_fma_f64 v[179:180], v[179:180], s[20:21], -v[197:198]
	v_fma_f64 v[104:105], v[104:105], s[16:17], v[80:81]
	v_fma_f64 v[167:168], v[167:168], s[16:17], v[82:83]
	;; [unrolled: 1-line block ×6, first 2 shown]
	v_fma_f64 v[98:99], v[98:99], s[28:29], -v[185:186]
	v_fma_f64 v[181:182], v[213:214], s[18:19], -v[217:218]
	v_fma_f64 v[183:184], v[215:216], s[18:19], -v[219:220]
	v_fma_f64 v[158:159], v[158:159], s[28:29], -v[209:210]
	v_fma_f64 v[185:186], v[169:170], s[26:27], v[221:222]
	v_fma_f64 v[197:198], v[160:161], s[26:27], v[223:224]
	v_fma_f64 v[213:214], v[213:214], s[20:21], -v[201:202]
	v_fma_f64 v[156:157], v[156:157], s[16:17], v[84:85]
	v_fma_f64 v[165:166], v[165:166], s[16:17], v[86:87]
	v_fma_f64 v[215:216], v[215:216], s[20:21], -v[205:206]
	v_fma_f64 v[169:170], v[169:170], s[22:23], v[209:210]
	v_fma_f64 v[160:161], v[160:161], s[22:23], v[211:212]
	;; [unrolled: 1-line block ×4, first 2 shown]
	v_fma_f64 v[100:101], v[100:101], s[28:29], -v[211:212]
	v_fma_f64 v[106:107], v[94:95], s[24:25], v[106:107]
	v_add_f64 v[171:172], v[171:172], v[104:105]
	v_add_f64 v[173:174], v[173:174], v[167:168]
	;; [unrolled: 1-line block ×3, first 2 shown]
	v_fma_f64 v[162:163], v[94:95], s[24:25], v[162:163]
	v_fma_f64 v[205:206], v[90:91], s[24:25], v[102:103]
	v_add_f64 v[207:208], v[88:89], v[104:105]
	v_add_f64 v[167:168], v[177:178], v[167:168]
	v_fma_f64 v[98:99], v[90:91], s[24:25], v[98:99]
	v_fma_f64 v[195:196], v[94:95], s[24:25], v[195:196]
	;; [unrolled: 1-line block ×3, first 2 shown]
	v_add_f64 v[175:176], v[175:176], v[104:105]
	v_fma_f64 v[177:178], v[96:97], s[24:25], v[158:159]
	v_fma_f64 v[185:186], v[96:97], s[24:25], v[185:186]
	v_add_f64 v[211:212], v[213:214], v[156:157]
	v_add_f64 v[183:184], v[183:184], v[165:166]
	;; [unrolled: 1-line block ×3, first 2 shown]
	v_fma_f64 v[215:216], v[96:97], s[24:25], v[169:170]
	v_fma_f64 v[217:218], v[92:93], s[24:25], v[160:161]
	v_add_f64 v[201:202], v[201:202], v[156:157]
	v_add_f64 v[203:204], v[203:204], v[165:166]
	v_fma_f64 v[197:198], v[92:93], s[24:25], v[197:198]
	v_fma_f64 v[209:210], v[92:93], s[24:25], v[100:101]
	v_add_f64 v[181:182], v[181:182], v[156:157]
	v_add_f64 v[90:91], v[106:107], v[173:174]
	v_add_f64 v[94:95], v[173:174], -v[106:107]
	s_barrier
	buffer_gl0_inv
	v_add_f64 v[104:105], v[205:206], v[207:208]
	v_add_f64 v[106:107], v[167:168], -v[162:163]
	v_add_f64 v[88:89], v[171:172], -v[98:99]
	v_add_f64 v[92:93], v[98:99], v[171:172]
	v_add_f64 v[98:99], v[179:180], -v[195:196]
	v_add_f64 v[96:97], v[199:200], v[175:176]
	;; [unrolled: 2-line block ×4, first 2 shown]
	v_add_f64 v[162:163], v[177:178], v[183:184]
	v_add_f64 v[167:168], v[183:184], -v[177:178]
	v_add_f64 v[171:172], v[213:214], -v[185:186]
	v_add_f64 v[177:178], v[217:218], v[201:202]
	v_add_f64 v[179:180], v[203:204], -v[215:216]
	v_add_f64 v[169:170], v[197:198], v[211:212]
	v_add_f64 v[173:174], v[211:212], -v[197:198]
	v_add_f64 v[160:161], v[181:182], -v[209:210]
	v_add_f64 v[165:166], v[209:210], v[181:182]
	v_add_f64 v[175:176], v[185:186], v[213:214]
	v_add_f64 v[181:182], v[201:202], -v[217:218]
	v_add_f64 v[183:184], v[215:216], v[203:204]
	v_add_co_u32 v185, vcc_lo, 0x1000, v225
	v_add_co_ci_u32_e32 v186, vcc_lo, 0, v226, vcc_lo
	v_add_co_u32 v195, vcc_lo, 0x1800, v225
	v_add_co_ci_u32_e32 v196, vcc_lo, 0, v226, vcc_lo
	ds_write_b128 v187, v[80:83]
	ds_write_b128 v187, v[84:87] offset:5488
	ds_write_b128 v187, v[104:107] offset:784
	;; [unrolled: 1-line block ×13, first 2 shown]
	s_waitcnt lgkmcnt(0)
	s_barrier
	buffer_gl0_inv
	s_clause 0x1
	global_load_dwordx4 v[80:83], v[185:186], off offset:1280
	global_load_dwordx4 v[84:87], v[195:196], off offset:16
	v_add_co_u32 v104, vcc_lo, 0x2000, v225
	v_add_co_ci_u32_e32 v105, vcc_lo, 0, v226, vcc_lo
	s_clause 0x4
	global_load_dwordx4 v[92:95], v[195:196], off offset:800
	global_load_dwordx4 v[88:91], v[195:196], off offset:1584
	;; [unrolled: 1-line block ×5, first 2 shown]
	ds_read_b128 v[156:159], v187 offset:5488
	ds_read_b128 v[160:163], v187 offset:6272
	;; [unrolled: 1-line block ×8, first 2 shown]
	ds_read_b128 v[199:202], v187
	ds_read_b128 v[203:206], v187 offset:784
	ds_read_b128 v[207:210], v187 offset:1568
	;; [unrolled: 1-line block ×5, first 2 shown]
	s_mov_b32 s15, 0x3fe11646
	s_mov_b32 s25, 0xbfdc38aa
	s_waitcnt vmcnt(6) lgkmcnt(13)
	v_mul_f64 v[185:186], v[158:159], v[82:83]
	v_mul_f64 v[223:224], v[156:157], v[82:83]
	s_waitcnt vmcnt(5) lgkmcnt(12)
	v_mul_f64 v[225:226], v[162:163], v[86:87]
	v_mul_f64 v[227:228], v[160:161], v[86:87]
	;; [unrolled: 3-line block ×7, first 2 shown]
	v_fma_f64 v[156:157], v[156:157], v[80:81], -v[185:186]
	v_fma_f64 v[158:159], v[158:159], v[80:81], v[223:224]
	v_fma_f64 v[160:161], v[160:161], v[84:85], -v[225:226]
	v_fma_f64 v[162:163], v[162:163], v[84:85], v[227:228]
	;; [unrolled: 2-line block ×7, first 2 shown]
	v_add_co_u32 v185, vcc_lo, 0x2800, v189
	v_add_co_ci_u32_e32 v186, vcc_lo, 0, v190, vcc_lo
	v_add_co_u32 v223, vcc_lo, 0x2ae0, v189
	v_add_co_ci_u32_e32 v224, vcc_lo, 0, v190, vcc_lo
	s_waitcnt lgkmcnt(5)
	v_add_f64 v[156:157], v[199:200], -v[156:157]
	v_add_f64 v[158:159], v[201:202], -v[158:159]
	s_waitcnt lgkmcnt(4)
	v_add_f64 v[160:161], v[203:204], -v[160:161]
	v_add_f64 v[162:163], v[205:206], -v[162:163]
	;; [unrolled: 3-line block ×6, first 2 shown]
	v_add_f64 v[181:182], v[195:196], -v[181:182]
	v_add_f64 v[183:184], v[197:198], -v[183:184]
	v_fma_f64 v[199:200], v[199:200], 2.0, -v[156:157]
	v_fma_f64 v[201:202], v[201:202], 2.0, -v[158:159]
	;; [unrolled: 1-line block ×14, first 2 shown]
	ds_write_b128 v187, v[156:159] offset:5488
	ds_write_b128 v187, v[160:163] offset:6272
	;; [unrolled: 1-line block ×7, first 2 shown]
	ds_write_b128 v187, v[199:202]
	ds_write_b128 v187, v[203:206] offset:784
	ds_write_b128 v187, v[207:210] offset:1568
	ds_write_b128 v187, v[211:214] offset:2352
	ds_write_b128 v187, v[215:218] offset:3136
	ds_write_b128 v187, v[219:222] offset:3920
	ds_write_b128 v187, v[195:198] offset:4704
	s_waitcnt lgkmcnt(0)
	s_barrier
	buffer_gl0_inv
	s_clause 0x1
	global_load_dwordx4 v[156:159], v[185:186], off offset:736
	global_load_dwordx4 v[160:163], v[223:224], off offset:1568
	v_add_co_u32 v185, vcc_lo, 0x3000, v189
	v_add_co_ci_u32_e32 v186, vcc_lo, 0, v190, vcc_lo
	v_add_co_u32 v231, vcc_lo, 0x3800, v189
	v_add_co_ci_u32_e32 v232, vcc_lo, 0, v190, vcc_lo
	s_clause 0x1
	global_load_dwordx4 v[165:168], v[185:186], off offset:1824
	global_load_dwordx4 v[169:172], v[231:232], off offset:1344
	v_add_co_u32 v239, vcc_lo, 0x4000, v189
	v_add_co_ci_u32_e32 v240, vcc_lo, 0, v190, vcc_lo
	v_add_co_u32 v243, vcc_lo, 0x4800, v189
	v_add_co_ci_u32_e32 v244, vcc_lo, 0, v190, vcc_lo
	global_load_dwordx4 v[173:176], v[239:240], off offset:864
	v_add_co_u32 v189, vcc_lo, 0x5000, v189
	global_load_dwordx4 v[177:180], v[243:244], off offset:384
	ds_read_b128 v[181:184], v187
	ds_read_b128 v[195:198], v187 offset:1568
	ds_read_b128 v[199:202], v187 offset:3136
	;; [unrolled: 1-line block ×3, first 2 shown]
	s_clause 0x2
	global_load_dwordx4 v[207:210], v[185:186], off offset:1040
	global_load_dwordx4 v[211:214], v[243:244], off offset:1952
	;; [unrolled: 1-line block ×3, first 2 shown]
	ds_read_b128 v[219:222], v187 offset:2352
	ds_read_b128 v[223:226], v187 offset:4704
	;; [unrolled: 1-line block ×3, first 2 shown]
	global_load_dwordx4 v[231:234], v[231:232], off offset:560
	v_add_co_ci_u32_e32 v190, vcc_lo, 0, v190, vcc_lo
	ds_read_b128 v[235:238], v187 offset:3920
	s_waitcnt vmcnt(9) lgkmcnt(7)
	v_mul_f64 v[185:186], v[183:184], v[158:159]
	v_mul_f64 v[158:159], v[181:182], v[158:159]
	s_waitcnt vmcnt(8) lgkmcnt(6)
	v_mul_f64 v[241:242], v[197:198], v[162:163]
	v_mul_f64 v[162:163], v[195:196], v[162:163]
	;; [unrolled: 3-line block ×3, first 2 shown]
	v_fma_f64 v[181:182], v[181:182], v[156:157], -v[185:186]
	v_mul_f64 v[185:186], v[201:202], v[167:168]
	v_mul_f64 v[167:168], v[199:200], v[167:168]
	v_fma_f64 v[183:184], v[183:184], v[156:157], v[158:159]
	global_load_dwordx4 v[156:159], v[239:240], off offset:80
	v_fma_f64 v[195:196], v[195:196], v[160:161], -v[241:242]
	v_fma_f64 v[197:198], v[197:198], v[160:161], v[162:163]
	ds_read_b128 v[160:163], v187 offset:5488
	v_fma_f64 v[223:224], v[223:224], v[169:170], -v[245:246]
	v_fma_f64 v[225:226], v[225:226], v[169:170], v[171:172]
	ds_read_b128 v[169:172], v187 offset:7840
	global_load_dwordx4 v[243:246], v[243:244], off offset:1168
	v_fma_f64 v[199:200], v[199:200], v[165:166], -v[185:186]
	s_waitcnt vmcnt(7) lgkmcnt(3)
	v_mul_f64 v[185:186], v[229:230], v[175:176]
	v_fma_f64 v[201:202], v[201:202], v[165:166], v[167:168]
	global_load_dwordx4 v[165:168], v[239:240], off offset:1648
	ds_read_b128 v[239:242], v187 offset:7056
	v_mul_f64 v[175:176], v[227:228], v[175:176]
	v_fma_f64 v[227:228], v[227:228], v[173:174], -v[185:186]
	s_waitcnt vmcnt(7) lgkmcnt(1)
	v_mul_f64 v[185:186], v[171:172], v[179:180]
	v_mul_f64 v[179:180], v[169:170], v[179:180]
	v_fma_f64 v[229:230], v[229:230], v[173:174], v[175:176]
	ds_read_b128 v[173:176], v187 offset:8624
	v_fma_f64 v[169:170], v[169:170], v[177:178], -v[185:186]
	v_fma_f64 v[171:172], v[171:172], v[177:178], v[179:180]
	global_load_dwordx4 v[177:180], v[189:190], off offset:688
	ds_read_b128 v[247:250], v187 offset:9408
	ds_read_b128 v[251:254], v187 offset:10192
	s_waitcnt vmcnt(6) lgkmcnt(1)
	v_mul_f64 v[185:186], v[249:250], v[213:214]
	v_mul_f64 v[189:190], v[247:248], v[213:214]
	s_waitcnt vmcnt(4)
	v_mul_f64 v[213:214], v[237:238], v[233:234]
	v_fma_f64 v[247:248], v[247:248], v[211:212], -v[185:186]
	v_mul_f64 v[185:186], v[205:206], v[217:218]
	v_fma_f64 v[249:250], v[249:250], v[211:212], v[189:190]
	v_mul_f64 v[189:190], v[203:204], v[217:218]
	v_fma_f64 v[213:214], v[235:236], v[231:232], -v[213:214]
	v_fma_f64 v[203:204], v[203:204], v[215:216], -v[185:186]
	v_mul_f64 v[185:186], v[221:222], v[209:210]
	v_fma_f64 v[205:206], v[205:206], v[215:216], v[189:190]
	v_mul_f64 v[189:190], v[219:220], v[209:210]
	v_fma_f64 v[209:210], v[219:220], v[207:208], -v[185:186]
	v_mul_f64 v[185:186], v[235:236], v[233:234]
	v_fma_f64 v[211:212], v[221:222], v[207:208], v[189:190]
	v_fma_f64 v[215:216], v[237:238], v[231:232], v[185:186]
	s_waitcnt vmcnt(3)
	v_mul_f64 v[189:190], v[162:163], v[158:159]
	v_mul_f64 v[207:208], v[160:161], v[158:159]
	s_waitcnt vmcnt(2)
	v_mul_f64 v[185:186], v[175:176], v[245:246]
	v_mul_f64 v[221:222], v[173:174], v[245:246]
	;; [unrolled: 3-line block ×3, first 2 shown]
	v_fma_f64 v[158:159], v[160:161], v[156:157], -v[189:190]
	v_fma_f64 v[160:161], v[162:163], v[156:157], v[207:208]
	v_fma_f64 v[217:218], v[239:240], v[165:166], -v[217:218]
	v_fma_f64 v[219:220], v[241:242], v[165:166], v[167:168]
	v_fma_f64 v[165:166], v[173:174], v[243:244], -v[185:186]
	v_fma_f64 v[167:168], v[175:176], v[243:244], v[221:222]
	s_waitcnt vmcnt(0) lgkmcnt(0)
	v_mul_f64 v[231:232], v[253:254], v[179:180]
	v_mul_f64 v[156:157], v[251:252], v[179:180]
	v_fma_f64 v[173:174], v[251:252], v[177:178], -v[231:232]
	v_fma_f64 v[175:176], v[253:254], v[177:178], v[156:157]
	ds_write_b128 v187, v[181:184]
	ds_write_b128 v187, v[195:198] offset:1568
	ds_write_b128 v187, v[199:202] offset:3136
	;; [unrolled: 1-line block ×13, first 2 shown]
	s_waitcnt lgkmcnt(0)
	s_barrier
	buffer_gl0_inv
	ds_read_b128 v[156:159], v187 offset:9408
	ds_read_b128 v[160:163], v187 offset:1568
	;; [unrolled: 1-line block ×12, first 2 shown]
	s_waitcnt lgkmcnt(10)
	v_add_f64 v[185:186], v[160:161], v[156:157]
	v_add_f64 v[189:190], v[162:163], v[158:159]
	v_add_f64 v[156:157], v[160:161], -v[156:157]
	s_waitcnt lgkmcnt(8)
	v_add_f64 v[160:161], v[169:170], v[165:166]
	v_add_f64 v[215:216], v[171:172], v[167:168]
	s_waitcnt lgkmcnt(6)
	v_add_f64 v[221:222], v[177:178], v[173:174]
	v_add_f64 v[223:224], v[179:180], v[175:176]
	v_add_f64 v[173:174], v[173:174], -v[177:178]
	v_add_f64 v[175:176], v[175:176], -v[179:180]
	s_waitcnt lgkmcnt(4)
	v_add_f64 v[177:178], v[181:182], v[195:196]
	v_add_f64 v[179:180], v[183:184], v[197:198]
	s_waitcnt lgkmcnt(2)
	v_add_f64 v[225:226], v[199:200], v[203:204]
	v_add_f64 v[227:228], v[201:202], v[205:206]
	v_add_f64 v[217:218], v[169:170], -v[165:166]
	v_add_f64 v[219:220], v[171:172], -v[167:168]
	;; [unrolled: 1-line block ×6, first 2 shown]
	s_waitcnt lgkmcnt(0)
	v_add_f64 v[197:198], v[207:208], v[211:212]
	v_add_f64 v[201:202], v[211:212], -v[207:208]
	v_add_f64 v[183:184], v[199:200], -v[203:204]
	v_add_f64 v[199:200], v[209:210], v[213:214]
	v_add_f64 v[203:204], v[213:214], -v[209:210]
	ds_read_b128 v[165:168], v187
	ds_read_b128 v[169:172], v187 offset:784
	v_add_f64 v[205:206], v[160:161], v[185:186]
	v_add_f64 v[207:208], v[215:216], v[189:190]
	v_add_f64 v[209:210], v[160:161], -v[185:186]
	v_add_f64 v[211:212], v[221:222], -v[160:161]
	;; [unrolled: 1-line block ×6, first 2 shown]
	v_add_f64 v[233:234], v[225:226], v[177:178]
	v_add_f64 v[235:236], v[227:228], v[179:180]
	v_add_f64 v[160:161], v[173:174], v[217:218]
	v_add_f64 v[229:230], v[173:174], -v[217:218]
	v_add_f64 v[217:218], v[217:218], -v[156:157]
	v_add_f64 v[231:232], v[175:176], v[219:220]
	v_add_f64 v[237:238], v[175:176], -v[219:220]
	v_add_f64 v[219:220], v[219:220], -v[158:159]
	;; [unrolled: 1-line block ×6, first 2 shown]
	v_add_f64 v[243:244], v[201:202], v[183:184]
	v_add_f64 v[245:246], v[201:202], -v[183:184]
	v_add_f64 v[205:206], v[221:222], v[205:206]
	v_add_f64 v[207:208], v[223:224], v[207:208]
	v_add_f64 v[183:184], v[183:184], -v[162:163]
	v_add_f64 v[221:222], v[203:204], -v[195:196]
	;; [unrolled: 1-line block ×4, first 2 shown]
	v_add_f64 v[247:248], v[203:204], v[195:196]
	v_add_f64 v[195:196], v[195:196], -v[181:182]
	v_add_f64 v[197:198], v[197:198], v[233:234]
	v_add_f64 v[199:200], v[199:200], v[235:236]
	v_add_f64 v[173:174], v[156:157], -v[173:174]
	v_add_f64 v[175:176], v[158:159], -v[175:176]
	v_add_f64 v[223:224], v[160:161], v[156:157]
	v_add_f64 v[231:232], v[231:232], v[158:159]
	v_mul_f64 v[233:234], v[211:212], s[6:7]
	v_mul_f64 v[235:236], v[215:216], s[6:7]
	;; [unrolled: 1-line block ×8, first 2 shown]
	s_waitcnt lgkmcnt(1)
	v_add_f64 v[156:157], v[165:166], v[205:206]
	v_add_f64 v[158:159], v[167:168], v[207:208]
	v_add_f64 v[201:202], v[162:163], -v[201:202]
	v_add_f64 v[203:204], v[181:182], -v[203:204]
	v_add_f64 v[243:244], v[243:244], v[162:163]
	v_mul_f64 v[165:166], v[245:246], s[14:15]
	v_mul_f64 v[167:168], v[221:222], s[14:15]
	;; [unrolled: 1-line block ×4, first 2 shown]
	s_waitcnt lgkmcnt(0)
	v_add_f64 v[160:161], v[169:170], v[197:198]
	v_add_f64 v[162:163], v[171:172], v[199:200]
	v_mul_f64 v[169:170], v[183:184], s[28:29]
	v_mul_f64 v[177:178], v[177:178], s[12:13]
	;; [unrolled: 1-line block ×4, first 2 shown]
	v_add_f64 v[181:182], v[247:248], v[181:182]
	v_fma_f64 v[233:234], v[209:210], s[18:19], -v[233:234]
	v_fma_f64 v[235:236], v[213:214], s[18:19], -v[235:236]
	;; [unrolled: 1-line block ×4, first 2 shown]
	v_fma_f64 v[247:248], v[173:174], s[22:23], v[249:250]
	v_fma_f64 v[249:250], v[175:176], s[22:23], v[251:252]
	v_fma_f64 v[209:210], v[209:210], s[20:21], -v[185:186]
	v_fma_f64 v[213:214], v[213:214], s[20:21], -v[189:190]
	v_fma_f64 v[173:174], v[173:174], s[26:27], v[229:230]
	v_fma_f64 v[175:176], v[175:176], s[26:27], v[237:238]
	;; [unrolled: 1-line block ×6, first 2 shown]
	v_fma_f64 v[211:212], v[239:240], s[18:19], -v[221:222]
	v_fma_f64 v[215:216], v[241:242], s[18:19], -v[245:246]
	;; [unrolled: 1-line block ×4, first 2 shown]
	v_fma_f64 v[169:170], v[201:202], s[22:23], v[169:170]
	v_fma_f64 v[221:222], v[239:240], s[20:21], -v[177:178]
	v_fma_f64 v[229:230], v[241:242], s[20:21], -v[179:180]
	v_fma_f64 v[197:198], v[197:198], s[16:17], v[160:161]
	v_fma_f64 v[199:200], v[199:200], s[16:17], v[162:163]
	;; [unrolled: 1-line block ×13, first 2 shown]
	v_add_f64 v[185:186], v[185:186], v[205:206]
	v_add_f64 v[189:190], v[189:190], v[207:208]
	;; [unrolled: 1-line block ×6, first 2 shown]
	v_fma_f64 v[233:234], v[243:244], s[24:25], v[183:184]
	v_fma_f64 v[237:238], v[243:244], s[24:25], v[169:170]
	;; [unrolled: 1-line block ×3, first 2 shown]
	v_add_f64 v[205:206], v[211:212], v[197:198]
	v_add_f64 v[207:208], v[215:216], v[199:200]
	v_fma_f64 v[241:242], v[243:244], s[24:25], v[165:166]
	v_fma_f64 v[243:244], v[181:182], s[24:25], v[167:168]
	v_add_f64 v[215:216], v[221:222], v[197:198]
	v_add_f64 v[221:222], v[177:178], v[197:198]
	;; [unrolled: 1-line block ×3, first 2 shown]
	v_fma_f64 v[239:240], v[181:182], s[24:25], v[171:172]
	v_add_f64 v[229:230], v[229:230], v[199:200]
	s_barrier
	buffer_gl0_inv
	v_add_f64 v[181:182], v[185:186], v[231:232]
	v_add_f64 v[183:184], v[189:190], -v[223:224]
	v_add_f64 v[173:174], v[209:210], v[219:220]
	v_add_f64 v[175:176], v[213:214], -v[217:218]
	v_add_f64 v[165:166], v[225:226], -v[203:204]
	v_add_f64 v[167:168], v[201:202], v[227:228]
	v_add_f64 v[169:170], v[225:226], v[203:204]
	v_add_f64 v[171:172], v[227:228], -v[201:202]
	v_add_f64 v[177:178], v[209:210], -v[219:220]
	v_add_f64 v[179:180], v[217:218], v[213:214]
	v_add_f64 v[195:196], v[185:186], -v[231:232]
	v_add_f64 v[197:198], v[223:224], v[189:190]
	;; [unrolled: 2-line block ×3, first 2 shown]
	v_add_f64 v[211:212], v[221:222], v[243:244]
	v_add_f64 v[213:214], v[245:246], -v[241:242]
	v_add_f64 v[203:204], v[205:206], v[235:236]
	v_add_f64 v[205:206], v[207:208], -v[233:234]
	;; [unrolled: 2-line block ×3, first 2 shown]
	v_add_f64 v[215:216], v[215:216], -v[239:240]
	v_add_f64 v[217:218], v[237:238], v[229:230]
	v_add_f64 v[219:220], v[221:222], -v[243:244]
	v_add_f64 v[221:222], v[241:242], v[245:246]
	ds_write_b128 v194, v[156:159]
	ds_write_b128 v194, v[181:184] offset:16
	ds_write_b128 v194, v[173:176] offset:32
	;; [unrolled: 1-line block ×6, first 2 shown]
	ds_write_b128 v193, v[160:163]
	ds_write_b128 v193, v[211:214] offset:16
	ds_write_b128 v193, v[207:210] offset:32
	ds_write_b128 v193, v[199:202] offset:48
	ds_write_b128 v193, v[203:206] offset:64
	ds_write_b128 v193, v[215:218] offset:80
	ds_write_b128 v193, v[219:222] offset:96
	s_waitcnt lgkmcnt(0)
	s_barrier
	buffer_gl0_inv
	ds_read_b128 v[156:159], v187 offset:1568
	ds_read_b128 v[160:163], v187 offset:3136
	;; [unrolled: 1-line block ×12, first 2 shown]
	s_waitcnt lgkmcnt(11)
	v_mul_f64 v[185:186], v[130:131], v[158:159]
	v_mul_f64 v[130:131], v[130:131], v[156:157]
	s_waitcnt lgkmcnt(10)
	v_mul_f64 v[189:190], v[122:123], v[162:163]
	v_mul_f64 v[122:123], v[122:123], v[160:161]
	;; [unrolled: 3-line block ×4, first 2 shown]
	v_mul_f64 v[213:214], v[114:115], v[167:168]
	s_waitcnt lgkmcnt(5)
	v_mul_f64 v[221:222], v[138:139], v[183:184]
	v_mul_f64 v[138:139], v[138:139], v[181:182]
	s_waitcnt lgkmcnt(4)
	v_mul_f64 v[223:224], v[134:135], v[195:196]
	;; [unrolled: 3-line block ×3, first 2 shown]
	s_waitcnt lgkmcnt(2)
	v_mul_f64 v[227:228], v[154:155], v[203:204]
	v_mul_f64 v[150:151], v[150:151], v[197:198]
	;; [unrolled: 1-line block ×6, first 2 shown]
	s_waitcnt lgkmcnt(1)
	v_mul_f64 v[229:230], v[146:147], v[207:208]
	v_fma_f64 v[156:157], v[128:129], v[156:157], v[185:186]
	v_fma_f64 v[128:129], v[128:129], v[158:159], -v[130:131]
	v_mul_f64 v[130:131], v[146:147], v[205:206]
	s_waitcnt lgkmcnt(0)
	v_mul_f64 v[146:147], v[142:143], v[211:212]
	v_mul_f64 v[142:143], v[142:143], v[209:210]
	v_fma_f64 v[158:159], v[120:121], v[160:161], v[189:190]
	v_fma_f64 v[120:121], v[120:121], v[162:163], -v[122:123]
	v_fma_f64 v[162:163], v[124:125], v[173:174], v[217:218]
	v_fma_f64 v[124:125], v[124:125], v[175:176], -v[126:127]
	;; [unrolled: 2-line block ×3, first 2 shown]
	v_fma_f64 v[122:123], v[112:113], v[165:166], v[213:214]
	v_fma_f64 v[118:119], v[136:137], v[181:182], v[221:222]
	v_fma_f64 v[136:137], v[136:137], v[183:184], -v[138:139]
	v_fma_f64 v[138:139], v[132:133], v[193:194], v[223:224]
	v_fma_f64 v[132:133], v[132:133], v[195:196], -v[134:135]
	v_fma_f64 v[134:135], v[148:149], v[197:198], v[225:226]
	v_fma_f64 v[165:166], v[152:153], v[201:202], v[227:228]
	v_fma_f64 v[148:149], v[148:149], v[199:200], -v[150:151]
	v_fma_f64 v[150:151], v[152:153], v[203:204], -v[154:155]
	;; [unrolled: 1-line block ×3, first 2 shown]
	v_fma_f64 v[152:153], v[108:109], v[169:170], v[215:216]
	v_fma_f64 v[154:155], v[108:109], v[171:172], -v[110:111]
	v_fma_f64 v[167:168], v[144:145], v[205:206], v[229:230]
	v_fma_f64 v[130:131], v[144:145], v[207:208], -v[130:131]
	;; [unrolled: 2-line block ×3, first 2 shown]
	ds_read_b128 v[108:111], v187
	ds_read_b128 v[112:115], v187 offset:784
	s_waitcnt lgkmcnt(0)
	v_add_f64 v[146:147], v[158:159], v[162:163]
	v_add_f64 v[171:172], v[120:121], v[124:125]
	;; [unrolled: 1-line block ×4, first 2 shown]
	v_add_f64 v[158:159], v[158:159], -v[162:163]
	v_add_f64 v[126:127], v[156:157], -v[126:127]
	;; [unrolled: 1-line block ×4, first 2 shown]
	s_barrier
	v_add_f64 v[173:174], v[118:119], v[134:135]
	v_add_f64 v[175:176], v[138:139], v[165:166]
	;; [unrolled: 1-line block ×4, first 2 shown]
	v_add_f64 v[128:129], v[138:139], -v[165:166]
	v_add_f64 v[181:182], v[122:123], v[152:153]
	v_add_f64 v[183:184], v[160:161], v[154:155]
	v_add_f64 v[122:123], v[152:153], -v[122:123]
	v_add_f64 v[124:125], v[154:155], -v[160:161]
	v_add_f64 v[185:186], v[167:168], v[144:145]
	v_add_f64 v[189:190], v[130:131], v[140:141]
	v_add_f64 v[138:139], v[144:145], -v[167:168]
	v_add_f64 v[118:119], v[118:119], -v[134:135]
	v_add_f64 v[130:131], v[140:141], -v[130:131]
	v_add_f64 v[134:135], v[136:137], -v[148:149]
	v_add_f64 v[136:137], v[146:147], v[142:143]
	v_add_f64 v[140:141], v[171:172], v[169:170]
	v_add_f64 v[132:133], v[132:133], -v[150:151]
	v_add_f64 v[150:151], v[146:147], -v[142:143]
	;; [unrolled: 1-line block ×3, first 2 shown]
	buffer_gl0_inv
	v_add_f64 v[144:145], v[175:176], v[173:174]
	v_add_f64 v[160:161], v[175:176], -v[173:174]
	v_add_f64 v[148:149], v[179:180], v[177:178]
	v_add_f64 v[167:168], v[179:180], -v[177:178]
	v_add_f64 v[146:147], v[181:182], -v[146:147]
	;; [unrolled: 1-line block ×7, first 2 shown]
	v_add_f64 v[169:170], v[122:123], v[158:159]
	v_add_f64 v[171:172], v[124:125], v[120:121]
	v_add_f64 v[173:174], v[122:123], -v[158:159]
	v_add_f64 v[158:159], v[158:159], -v[126:127]
	v_add_f64 v[175:176], v[138:139], v[128:129]
	v_add_f64 v[193:194], v[124:125], -v[120:121]
	v_add_f64 v[120:121], v[120:121], -v[116:117]
	v_add_f64 v[136:137], v[181:182], v[136:137]
	v_add_f64 v[140:141], v[183:184], v[140:141]
	v_add_f64 v[181:182], v[138:139], -v[128:129]
	v_add_f64 v[195:196], v[130:131], v[132:133]
	v_add_f64 v[179:180], v[189:190], -v[179:180]
	v_add_f64 v[177:178], v[177:178], -v[189:190]
	;; [unrolled: 1-line block ×5, first 2 shown]
	v_add_f64 v[144:145], v[185:186], v[144:145]
	v_add_f64 v[148:149], v[189:190], v[148:149]
	v_add_f64 v[122:123], v[126:127], -v[122:123]
	v_add_f64 v[124:125], v[116:117], -v[124:125]
	;; [unrolled: 1-line block ×3, first 2 shown]
	v_mul_f64 v[185:186], v[146:147], s[6:7]
	v_add_f64 v[126:127], v[169:170], v[126:127]
	v_add_f64 v[116:117], v[171:172], v[116:117]
	v_mul_f64 v[169:170], v[173:174], s[14:15]
	v_mul_f64 v[171:172], v[158:159], s[28:29]
	v_add_f64 v[118:119], v[175:176], v[118:119]
	v_mul_f64 v[173:174], v[193:194], s[14:15]
	v_mul_f64 v[175:176], v[120:121], s[28:29]
	;; [unrolled: 1-line block ×5, first 2 shown]
	v_add_f64 v[108:109], v[108:109], v[136:137]
	v_add_f64 v[110:111], v[110:111], v[140:141]
	v_mul_f64 v[181:182], v[181:182], s[14:15]
	v_add_f64 v[130:131], v[134:135], -v[130:131]
	v_add_f64 v[134:135], v[195:196], v[134:135]
	v_mul_f64 v[193:194], v[128:129], s[28:29]
	v_mul_f64 v[183:184], v[183:184], s[14:15]
	;; [unrolled: 1-line block ×7, first 2 shown]
	v_add_f64 v[112:113], v[112:113], v[144:145]
	v_add_f64 v[114:115], v[114:115], v[148:149]
	v_fma_f64 v[158:159], v[158:159], s[8:9], -v[169:170]
	v_fma_f64 v[171:172], v[122:123], s[22:23], v[171:172]
	v_fma_f64 v[122:123], v[122:123], s[26:27], v[169:170]
	v_fma_f64 v[120:121], v[120:121], s[8:9], -v[173:174]
	v_fma_f64 v[169:170], v[124:125], s[22:23], v[175:176]
	v_fma_f64 v[124:125], v[124:125], s[26:27], v[173:174]
	v_fma_f64 v[173:174], v[150:151], s[18:19], -v[185:186]
	v_fma_f64 v[150:151], v[150:151], s[20:21], -v[142:143]
	v_fma_f64 v[142:143], v[146:147], s[6:7], v[142:143]
	v_fma_f64 v[146:147], v[152:153], s[18:19], -v[189:190]
	v_fma_f64 v[136:137], v[136:137], s[16:17], v[108:109]
	v_fma_f64 v[140:141], v[140:141], s[16:17], v[110:111]
	v_fma_f64 v[152:153], v[152:153], s[20:21], -v[156:157]
	v_fma_f64 v[154:155], v[154:155], s[6:7], v[156:157]
	v_fma_f64 v[128:129], v[128:129], s[8:9], -v[181:182]
	v_fma_f64 v[156:157], v[138:139], s[22:23], v[193:194]
	v_fma_f64 v[138:139], v[138:139], s[26:27], v[181:182]
	v_fma_f64 v[132:133], v[132:133], s[8:9], -v[183:184]
	v_fma_f64 v[175:176], v[130:131], s[22:23], v[195:196]
	v_fma_f64 v[130:131], v[130:131], s[26:27], v[183:184]
	v_fma_f64 v[181:182], v[160:161], s[18:19], -v[197:198]
	v_fma_f64 v[183:184], v[167:168], s[18:19], -v[199:200]
	v_fma_f64 v[144:145], v[144:145], s[16:17], v[112:113]
	v_fma_f64 v[148:149], v[148:149], s[16:17], v[114:115]
	v_fma_f64 v[160:161], v[160:161], s[20:21], -v[165:166]
	v_fma_f64 v[162:163], v[162:163], s[6:7], v[165:166]
	v_fma_f64 v[165:166], v[167:168], s[20:21], -v[177:178]
	v_fma_f64 v[167:168], v[179:180], s[6:7], v[177:178]
	v_fma_f64 v[158:159], v[126:127], s[24:25], v[158:159]
	;; [unrolled: 1-line block ×5, first 2 shown]
	v_add_f64 v[122:123], v[173:174], v[136:137]
	v_add_f64 v[126:127], v[146:147], v[140:141]
	v_fma_f64 v[146:147], v[116:117], s[24:25], v[169:170]
	v_fma_f64 v[169:170], v[116:117], s[24:25], v[124:125]
	v_add_f64 v[124:125], v[150:151], v[136:137]
	v_add_f64 v[150:151], v[152:153], v[140:141]
	v_fma_f64 v[152:153], v[118:119], s[24:25], v[128:129]
	v_add_f64 v[128:129], v[142:143], v[136:137]
	v_add_f64 v[136:137], v[154:155], v[140:141]
	v_fma_f64 v[173:174], v[134:135], s[24:25], v[132:133]
	v_fma_f64 v[154:155], v[118:119], s[24:25], v[156:157]
	;; [unrolled: 1-line block ×3, first 2 shown]
	v_add_f64 v[156:157], v[181:182], v[144:145]
	v_add_f64 v[179:180], v[183:184], v[148:149]
	v_fma_f64 v[181:182], v[118:119], s[24:25], v[138:139]
	v_fma_f64 v[183:184], v[134:135], s[24:25], v[130:131]
	v_add_f64 v[162:163], v[162:163], v[144:145]
	v_add_f64 v[167:168], v[167:168], v[148:149]
	;; [unrolled: 1-line block ×4, first 2 shown]
	v_add_f64 v[116:117], v[122:123], -v[120:121]
	v_add_f64 v[118:119], v[158:159], v[126:127]
	v_add_f64 v[120:121], v[120:121], v[122:123]
	v_add_f64 v[122:123], v[126:127], -v[158:159]
	v_add_f64 v[132:133], v[146:147], v[124:125]
	v_add_f64 v[134:135], v[150:151], -v[171:172]
	v_add_f64 v[126:127], v[171:172], v[150:151]
	v_add_f64 v[148:149], v[169:170], v[128:129]
	v_add_f64 v[150:151], v[136:137], -v[177:178]
	v_add_f64 v[124:125], v[124:125], -v[146:147]
	;; [unrolled: 1-line block ×3, first 2 shown]
	v_add_f64 v[142:143], v[177:178], v[136:137]
	v_add_f64 v[128:129], v[156:157], -v[173:174]
	v_add_f64 v[136:137], v[173:174], v[156:157]
	v_add_f64 v[130:131], v[152:153], v[179:180]
	v_add_f64 v[138:139], v[179:180], -v[152:153]
	v_add_f64 v[156:157], v[183:184], v[162:163]
	v_add_f64 v[158:159], v[167:168], -v[181:182]
	;; [unrolled: 2-line block ×3, first 2 shown]
	v_add_f64 v[152:153], v[160:161], -v[175:176]
	v_add_f64 v[154:155], v[154:155], v[165:166]
	v_add_f64 v[160:161], v[162:163], -v[183:184]
	v_add_f64 v[162:163], v[181:182], v[167:168]
	v_mad_u64_u32 v[165:166], null, s2, v164, 0
	ds_write_b128 v192, v[108:111]
	ds_write_b128 v192, v[148:151] offset:112
	ds_write_b128 v192, v[132:135] offset:224
	;; [unrolled: 1-line block ×6, first 2 shown]
	ds_write_b128 v191, v[112:115]
	ds_write_b128 v191, v[156:159] offset:112
	ds_write_b128 v191, v[144:147] offset:224
	;; [unrolled: 1-line block ×6, first 2 shown]
	s_waitcnt lgkmcnt(0)
	s_barrier
	buffer_gl0_inv
	ds_read_b128 v[108:111], v187 offset:1568
	ds_read_b128 v[112:115], v187 offset:2352
	;; [unrolled: 1-line block ×6, first 2 shown]
	v_mov_b32_e32 v132, v166
	v_mad_u64_u32 v[167:168], null, s0, v188, 0
	s_mul_i32 s2, s0, 0x620
	v_mad_u64_u32 v[156:157], null, s3, v164, v[132:133]
	ds_read_b128 v[132:135], v187 offset:4704
	ds_read_b128 v[136:139], v187 offset:6272
	;; [unrolled: 1-line block ×4, first 2 shown]
	s_mul_hi_u32 s3, s0, 0x620
	v_mov_b32_e32 v148, v168
	s_add_i32 s3, s3, s10
	v_mov_b32_e32 v166, v156
	v_mad_u64_u32 v[157:158], null, s1, v188, v[148:149]
	s_waitcnt lgkmcnt(9)
	v_mul_f64 v[158:159], v[66:67], v[110:111]
	v_mul_f64 v[160:161], v[66:67], v[108:109]
	s_waitcnt lgkmcnt(8)
	v_mul_f64 v[162:163], v[66:67], v[114:115]
	v_mul_f64 v[66:67], v[66:67], v[112:113]
	;; [unrolled: 3-line block ×6, first 2 shown]
	ds_read_b128 v[148:151], v187 offset:5488
	ds_read_b128 v[152:155], v187 offset:7056
	s_waitcnt lgkmcnt(3)
	v_mul_f64 v[188:189], v[78:79], v[142:143]
	s_waitcnt lgkmcnt(2)
	v_mul_f64 v[190:191], v[74:75], v[146:147]
	v_mul_f64 v[78:79], v[78:79], v[140:141]
	;; [unrolled: 1-line block ×7, first 2 shown]
	s_mulk_i32 s1, 0xde50
	v_fma_f64 v[108:109], v[64:65], v[108:109], v[158:159]
	v_fma_f64 v[110:111], v[64:65], v[110:111], -v[160:161]
	v_fma_f64 v[112:113], v[64:65], v[112:113], v[162:163]
	v_fma_f64 v[64:65], v[64:65], v[114:115], -v[66:67]
	;; [unrolled: 2-line block ×4, first 2 shown]
	v_fma_f64 v[60:61], v[72:73], v[124:125], v[174:175]
	s_waitcnt lgkmcnt(1)
	v_mul_f64 v[194:195], v[58:59], v[150:151]
	v_mul_f64 v[58:59], v[58:59], v[148:149]
	s_waitcnt lgkmcnt(0)
	v_mul_f64 v[198:199], v[70:71], v[154:155]
	v_mul_f64 v[70:71], v[70:71], v[152:153]
	v_fma_f64 v[120:121], v[76:77], v[128:129], v[178:179]
	v_fma_f64 v[122:123], v[76:77], v[130:131], -v[180:181]
	v_fma_f64 v[124:125], v[72:73], v[126:127], -v[176:177]
	v_fma_f64 v[126:127], v[76:77], v[140:141], v[188:189]
	v_fma_f64 v[128:129], v[72:73], v[144:145], v[190:191]
	v_fma_f64 v[76:77], v[76:77], v[142:143], -v[78:79]
	v_fma_f64 v[72:73], v[72:73], v[146:147], -v[74:75]
	v_fma_f64 v[62:63], v[56:57], v[132:133], v[182:183]
	v_fma_f64 v[74:75], v[68:69], v[136:137], v[184:185]
	v_fma_f64 v[78:79], v[56:57], v[134:135], -v[192:193]
	v_fma_f64 v[134:135], v[68:69], v[138:139], -v[196:197]
	v_mov_b32_e32 v168, v157
	v_add_f64 v[142:143], v[66:67], v[60:61]
	v_fma_f64 v[130:131], v[56:57], v[148:149], v[194:195]
	v_fma_f64 v[132:133], v[56:57], v[150:151], -v[58:59]
	v_fma_f64 v[136:137], v[68:69], v[152:153], v[198:199]
	v_fma_f64 v[68:69], v[68:69], v[154:155], -v[70:71]
	v_add_f64 v[138:139], v[108:109], v[120:121]
	v_add_f64 v[140:141], v[110:111], v[122:123]
	;; [unrolled: 1-line block ×7, first 2 shown]
	v_add_f64 v[66:67], v[66:67], -v[60:61]
	v_add_f64 v[154:155], v[74:75], -v[62:63]
	v_add_f64 v[74:75], v[62:63], v[74:75]
	v_add_f64 v[156:157], v[78:79], v[134:135]
	v_add_f64 v[108:109], v[108:109], -v[120:121]
	v_add_f64 v[114:115], v[114:115], -v[124:125]
	;; [unrolled: 1-line block ×8, first 2 shown]
	v_lshlrev_b64 v[56:57], 4, v[165:166]
	v_add_f64 v[158:159], v[130:131], v[136:137]
	v_add_f64 v[160:161], v[132:133], v[68:69]
	v_add_f64 v[120:121], v[136:137], -v[130:131]
	v_add_f64 v[68:69], v[68:69], -v[132:133]
	v_add_f64 v[76:77], v[142:143], v[138:139]
	v_add_f64 v[118:119], v[144:145], v[140:141]
	;; [unrolled: 1-line block ×3, first 2 shown]
	v_lshlrev_b64 v[70:71], 4, v[167:168]
	v_add_f64 v[124:125], v[152:153], v[150:151]
	v_add_f64 v[128:129], v[142:143], -v[138:139]
	v_add_f64 v[126:127], v[154:155], v[66:67]
	v_add_f64 v[130:131], v[138:139], -v[74:75]
	v_add_f64 v[132:133], v[74:75], -v[142:143]
	;; [unrolled: 1-line block ×9, first 2 shown]
	v_add_co_u32 v174, vcc_lo, s4, v56
	v_add_f64 v[144:145], v[158:159], -v[148:149]
	v_add_f64 v[148:149], v[78:79], v[114:115]
	v_add_f64 v[162:163], v[120:121], v[116:117]
	;; [unrolled: 1-line block ×5, first 2 shown]
	v_add_f64 v[114:115], v[114:115], -v[110:111]
	v_add_co_ci_u32_e32 v175, vcc_lo, s5, v57, vcc_lo
	ds_read_b128 v[56:59], v187
	ds_read_b128 v[60:63], v187 offset:784
	v_add_f64 v[142:143], v[146:147], -v[158:159]
	v_add_f64 v[146:147], v[152:153], -v[150:151]
	;; [unrolled: 1-line block ×6, first 2 shown]
	v_add_f64 v[122:123], v[158:159], v[122:123]
	v_add_f64 v[124:125], v[160:161], v[124:125]
	v_add_f64 v[152:153], v[160:161], -v[152:153]
	v_add_f64 v[72:73], v[72:73], -v[64:65]
	v_add_f64 v[154:155], v[108:109], -v[154:155]
	v_add_f64 v[78:79], v[110:111], -v[78:79]
	v_add_f64 v[120:121], v[112:113], -v[120:121]
	v_add_f64 v[68:69], v[64:65], -v[68:69]
	v_add_f64 v[108:109], v[126:127], v[108:109]
	v_add_f64 v[110:111], v[148:149], v[110:111]
	v_mul_f64 v[126:127], v[130:131], s[12:13]
	v_mul_f64 v[130:131], v[132:133], s[6:7]
	v_add_f64 v[112:113], v[162:163], v[112:113]
	v_mul_f64 v[136:137], v[136:137], s[12:13]
	v_mul_f64 v[148:149], v[138:139], s[6:7]
	;; [unrolled: 3-line block ×3, first 2 shown]
	s_waitcnt lgkmcnt(1)
	v_add_f64 v[64:65], v[56:57], v[74:75]
	v_add_f64 v[66:67], v[58:59], v[76:77]
	v_mul_f64 v[160:161], v[168:169], s[28:29]
	v_mul_f64 v[164:165], v[114:115], s[28:29]
	;; [unrolled: 1-line block ×8, first 2 shown]
	s_waitcnt lgkmcnt(0)
	v_add_f64 v[60:61], v[60:61], v[122:123]
	v_add_f64 v[62:63], v[62:63], v[124:125]
	v_mul_f64 v[58:59], v[152:153], s[6:7]
	v_mul_f64 v[172:173], v[72:73], s[28:29]
	v_fma_f64 v[132:133], v[132:133], s[6:7], v[126:127]
	v_fma_f64 v[130:131], v[128:129], s[18:19], -v[130:131]
	v_fma_f64 v[126:127], v[128:129], s[20:21], -v[126:127]
	v_fma_f64 v[128:129], v[138:139], s[6:7], v[136:137]
	v_fma_f64 v[138:139], v[134:135], s[18:19], -v[148:149]
	v_fma_f64 v[134:135], v[134:135], s[20:21], -v[136:137]
	v_fma_f64 v[136:137], v[154:155], s[26:27], v[158:159]
	v_fma_f64 v[148:149], v[168:169], s[8:9], -v[158:159]
	v_fma_f64 v[158:159], v[78:79], s[26:27], v[162:163]
	v_fma_f64 v[74:75], v[74:75], s[16:17], v[64:65]
	v_fma_f64 v[76:77], v[76:77], s[16:17], v[66:67]
	v_fma_f64 v[114:115], v[114:115], s[8:9], -v[162:163]
	v_fma_f64 v[154:155], v[154:155], s[22:23], v[160:161]
	v_fma_f64 v[78:79], v[78:79], s[22:23], v[164:165]
	;; [unrolled: 4-line block ×3, first 2 shown]
	v_fma_f64 v[140:141], v[140:141], s[20:21], -v[142:143]
	v_fma_f64 v[142:143], v[152:153], s[6:7], v[56:57]
	v_fma_f64 v[72:73], v[72:73], s[8:9], -v[118:119]
	v_fma_f64 v[118:119], v[120:121], s[22:23], v[170:171]
	v_fma_f64 v[120:121], v[122:123], s[16:17], v[60:61]
	;; [unrolled: 1-line block ×3, first 2 shown]
	v_fma_f64 v[116:117], v[116:117], s[8:9], -v[150:151]
	v_fma_f64 v[68:69], v[68:69], s[22:23], v[172:173]
	v_fma_f64 v[58:59], v[146:147], s[18:19], -v[58:59]
	v_fma_f64 v[56:57], v[146:147], s[20:21], -v[56:57]
	v_fma_f64 v[124:125], v[108:109], s[24:25], v[136:137]
	v_fma_f64 v[136:137], v[108:109], s[24:25], v[148:149]
	;; [unrolled: 1-line block ×3, first 2 shown]
	v_add_f64 v[132:133], v[132:133], v[74:75]
	v_add_f64 v[128:129], v[128:129], v[76:77]
	v_fma_f64 v[114:115], v[110:111], s[24:25], v[114:115]
	v_fma_f64 v[148:149], v[108:109], s[24:25], v[154:155]
	;; [unrolled: 1-line block ×3, first 2 shown]
	v_add_f64 v[78:79], v[130:131], v[74:75]
	v_add_f64 v[108:109], v[138:139], v[76:77]
	v_add_f64 v[126:127], v[126:127], v[74:75]
	v_add_f64 v[130:131], v[134:135], v[76:77]
	v_fma_f64 v[152:153], v[112:113], s[24:25], v[162:163]
	v_fma_f64 v[154:155], v[156:157], s[24:25], v[164:165]
	;; [unrolled: 1-line block ×4, first 2 shown]
	v_add_f64 v[144:145], v[144:145], v[120:121]
	v_add_f64 v[142:143], v[142:143], v[122:123]
	v_fma_f64 v[134:135], v[112:113], s[24:25], v[116:117]
	v_fma_f64 v[156:157], v[156:157], s[24:25], v[68:69]
	v_add_f64 v[58:59], v[58:59], v[122:123]
	v_add_f64 v[140:141], v[140:141], v[120:121]
	;; [unrolled: 1-line block ×4, first 2 shown]
	v_add_co_u32 v56, vcc_lo, v174, v70
	v_add_co_ci_u32_e32 v57, vcc_lo, v175, v71, vcc_lo
	v_add_f64 v[68:69], v[146:147], v[132:133]
	v_add_f64 v[70:71], v[128:129], -v[124:125]
	v_add_f64 v[72:73], v[78:79], -v[114:115]
	v_add_f64 v[74:75], v[136:137], v[108:109]
	v_add_f64 v[76:77], v[114:115], v[78:79]
	v_add_f64 v[78:79], v[108:109], -v[136:137]
	v_add_f64 v[108:109], v[150:151], v[126:127]
	v_add_f64 v[110:111], v[130:131], -v[148:149]
	v_add_f64 v[112:113], v[126:127], -v[150:151]
	v_add_f64 v[114:115], v[148:149], v[130:131]
	v_add_f64 v[116:117], v[132:133], -v[146:147]
	v_add_f64 v[118:119], v[124:125], v[128:129]
	v_add_f64 v[120:121], v[154:155], v[144:145]
	v_add_f64 v[122:123], v[142:143], -v[152:153]
	v_add_f64 v[126:127], v[134:135], v[58:59]
	v_add_f64 v[130:131], v[58:59], -v[134:135]
	;; [unrolled: 2-line block ×3, first 2 shown]
	v_add_f64 v[124:125], v[160:161], -v[138:139]
	v_add_f64 v[128:129], v[138:139], v[160:161]
	v_add_f64 v[136:137], v[140:141], -v[156:157]
	v_add_f64 v[138:139], v[158:159], v[162:163]
	;; [unrolled: 2-line block ×3, first 2 shown]
	s_barrier
	buffer_gl0_inv
	ds_write_b128 v187, v[64:67]
	ds_write_b128 v187, v[60:63] offset:5488
	ds_write_b128 v187, v[68:71] offset:784
	;; [unrolled: 1-line block ×13, first 2 shown]
	s_waitcnt lgkmcnt(0)
	s_barrier
	buffer_gl0_inv
	ds_read_b128 v[66:69], v187 offset:5488
	ds_read_b128 v[70:73], v187 offset:6272
	;; [unrolled: 1-line block ×8, first 2 shown]
	ds_read_b128 v[128:131], v187
	ds_read_b128 v[132:135], v187 offset:784
	ds_read_b128 v[136:139], v187 offset:1568
	;; [unrolled: 1-line block ×5, first 2 shown]
	v_add_co_u32 v58, vcc_lo, v56, s2
	v_add_co_ci_u32_e32 v59, vcc_lo, s3, v57, vcc_lo
	v_add_co_u32 v60, vcc_lo, v58, s2
	v_add_co_ci_u32_e32 v61, vcc_lo, s3, v59, vcc_lo
	;; [unrolled: 2-line block ×3, first 2 shown]
	s_waitcnt lgkmcnt(13)
	v_mul_f64 v[78:79], v[82:83], v[68:69]
	v_mul_f64 v[82:83], v[82:83], v[66:67]
	s_waitcnt lgkmcnt(12)
	v_mul_f64 v[152:153], v[86:87], v[72:73]
	v_mul_f64 v[86:87], v[86:87], v[70:71]
	;; [unrolled: 3-line block ×7, first 2 shown]
	v_add_co_u32 v64, vcc_lo, v62, s2
	v_add_co_ci_u32_e32 v65, vcc_lo, s3, v63, vcc_lo
	v_add_co_u32 v164, vcc_lo, v64, s2
	v_add_co_ci_u32_e32 v165, vcc_lo, s3, v65, vcc_lo
	v_fma_f64 v[66:67], v[80:81], v[66:67], v[78:79]
	v_fma_f64 v[68:69], v[80:81], v[68:69], -v[82:83]
	v_fma_f64 v[70:71], v[84:85], v[70:71], v[152:153]
	v_fma_f64 v[72:73], v[84:85], v[72:73], -v[86:87]
	;; [unrolled: 2-line block ×7, first 2 shown]
	v_add_co_u32 v122, vcc_lo, v164, s2
	v_add_co_ci_u32_e32 v123, vcc_lo, s3, v165, vcc_lo
	v_mad_u64_u32 v[152:153], null, 0xffffde50, s0, v[122:123]
	s_waitcnt lgkmcnt(5)
	v_add_f64 v[66:67], v[128:129], -v[66:67]
	v_add_f64 v[68:69], v[130:131], -v[68:69]
	s_waitcnt lgkmcnt(4)
	v_add_f64 v[70:71], v[132:133], -v[70:71]
	v_add_f64 v[72:73], v[134:135], -v[72:73]
	;; [unrolled: 3-line block ×6, first 2 shown]
	v_add_f64 v[90:91], v[124:125], -v[90:91]
	v_add_f64 v[92:93], v[126:127], -v[92:93]
	s_sub_i32 s0, s1, s0
	v_add_nc_u32_e32 v153, s0, v153
	s_mov_b32 s0, 0x515a4f1d
	s_mov_b32 s1, 0x3f57e225
	v_fma_f64 v[94:95], v[128:129], 2.0, -v[66:67]
	v_fma_f64 v[96:97], v[130:131], 2.0, -v[68:69]
	v_fma_f64 v[98:99], v[132:133], 2.0, -v[70:71]
	v_fma_f64 v[100:101], v[134:135], 2.0, -v[72:73]
	v_fma_f64 v[102:103], v[136:137], 2.0, -v[74:75]
	v_fma_f64 v[104:105], v[138:139], 2.0, -v[76:77]
	v_fma_f64 v[106:107], v[140:141], 2.0, -v[78:79]
	v_fma_f64 v[108:109], v[142:143], 2.0, -v[80:81]
	v_fma_f64 v[110:111], v[144:145], 2.0, -v[82:83]
	v_fma_f64 v[112:113], v[146:147], 2.0, -v[84:85]
	v_fma_f64 v[114:115], v[148:149], 2.0, -v[86:87]
	v_fma_f64 v[116:117], v[150:151], 2.0, -v[88:89]
	v_fma_f64 v[118:119], v[124:125], 2.0, -v[90:91]
	v_fma_f64 v[120:121], v[126:127], 2.0, -v[92:93]
	ds_write_b128 v187, v[66:69] offset:5488
	ds_write_b128 v187, v[70:73] offset:6272
	;; [unrolled: 1-line block ×7, first 2 shown]
	ds_write_b128 v187, v[94:97]
	ds_write_b128 v187, v[98:101] offset:784
	ds_write_b128 v187, v[102:105] offset:1568
	;; [unrolled: 1-line block ×6, first 2 shown]
	s_waitcnt lgkmcnt(0)
	s_barrier
	buffer_gl0_inv
	ds_read_b128 v[66:69], v187
	ds_read_b128 v[70:73], v187 offset:1568
	ds_read_b128 v[74:77], v187 offset:3136
	;; [unrolled: 1-line block ×13, first 2 shown]
	v_add_co_u32 v124, vcc_lo, v152, s2
	v_add_co_ci_u32_e32 v125, vcc_lo, s3, v153, vcc_lo
	v_add_co_u32 v126, vcc_lo, v124, s2
	v_add_co_ci_u32_e32 v127, vcc_lo, s3, v125, vcc_lo
	v_add_co_u32 v128, vcc_lo, v126, s2
	s_waitcnt lgkmcnt(7)
	v_mul_f64 v[144:145], v[18:19], v[92:93]
	v_mul_f64 v[18:19], v[18:19], v[90:91]
	s_waitcnt lgkmcnt(6)
	v_mul_f64 v[146:147], v[2:3], v[96:97]
	v_mul_f64 v[136:137], v[26:27], v[76:77]
	;; [unrolled: 1-line block ×14, first 2 shown]
	s_waitcnt lgkmcnt(5)
	v_mul_f64 v[148:149], v[22:23], v[100:101]
	v_mul_f64 v[22:23], v[22:23], v[98:99]
	s_waitcnt lgkmcnt(4)
	v_mul_f64 v[150:151], v[30:31], v[104:105]
	v_mul_f64 v[30:31], v[30:31], v[102:103]
	;; [unrolled: 3-line block ×6, first 2 shown]
	v_fma_f64 v[66:67], v[8:9], v[66:67], v[132:133]
	v_fma_f64 v[8:9], v[8:9], v[68:69], -v[10:11]
	v_fma_f64 v[10:11], v[4:5], v[70:71], v[134:135]
	v_fma_f64 v[6:7], v[4:5], v[72:73], -v[6:7]
	;; [unrolled: 2-line block ×14, first 2 shown]
	v_mul_f64 v[0:1], v[66:67], s[0:1]
	v_mul_f64 v[2:3], v[8:9], s[0:1]
	;; [unrolled: 1-line block ×14, first 2 shown]
	v_add_co_ci_u32_e32 v129, vcc_lo, s3, v127, vcc_lo
	v_mul_f64 v[28:29], v[76:77], s[0:1]
	v_mul_f64 v[30:31], v[78:79], s[0:1]
	;; [unrolled: 1-line block ×6, first 2 shown]
	v_add_co_u32 v130, vcc_lo, v128, s2
	v_mul_f64 v[40:41], v[88:89], s[0:1]
	v_mul_f64 v[42:43], v[90:91], s[0:1]
	;; [unrolled: 1-line block ×4, first 2 shown]
	v_add_co_ci_u32_e32 v131, vcc_lo, s3, v129, vcc_lo
	v_mul_f64 v[48:49], v[94:95], s[0:1]
	v_mul_f64 v[50:51], v[50:51], s[0:1]
	;; [unrolled: 1-line block ×4, first 2 shown]
	v_add_co_u32 v66, vcc_lo, v130, s2
	v_add_co_ci_u32_e32 v67, vcc_lo, s3, v131, vcc_lo
	v_add_co_u32 v68, vcc_lo, v66, s2
	v_add_co_ci_u32_e32 v69, vcc_lo, s3, v67, vcc_lo
	global_store_dwordx4 v[56:57], v[0:3], off
	global_store_dwordx4 v[58:59], v[4:7], off
	;; [unrolled: 1-line block ×14, first 2 shown]
.LBB0_2:
	s_endpgm
	.section	.rodata,"a",@progbits
	.p2align	6, 0x0
	.amdhsa_kernel bluestein_single_fwd_len686_dim1_dp_op_CI_CI
		.amdhsa_group_segment_fixed_size 10976
		.amdhsa_private_segment_fixed_size 0
		.amdhsa_kernarg_size 104
		.amdhsa_user_sgpr_count 6
		.amdhsa_user_sgpr_private_segment_buffer 1
		.amdhsa_user_sgpr_dispatch_ptr 0
		.amdhsa_user_sgpr_queue_ptr 0
		.amdhsa_user_sgpr_kernarg_segment_ptr 1
		.amdhsa_user_sgpr_dispatch_id 0
		.amdhsa_user_sgpr_flat_scratch_init 0
		.amdhsa_user_sgpr_private_segment_size 0
		.amdhsa_wavefront_size32 1
		.amdhsa_uses_dynamic_stack 0
		.amdhsa_system_sgpr_private_segment_wavefront_offset 0
		.amdhsa_system_sgpr_workgroup_id_x 1
		.amdhsa_system_sgpr_workgroup_id_y 0
		.amdhsa_system_sgpr_workgroup_id_z 0
		.amdhsa_system_sgpr_workgroup_info 0
		.amdhsa_system_vgpr_workitem_id 0
		.amdhsa_next_free_vgpr 255
		.amdhsa_next_free_sgpr 30
		.amdhsa_reserve_vcc 1
		.amdhsa_reserve_flat_scratch 0
		.amdhsa_float_round_mode_32 0
		.amdhsa_float_round_mode_16_64 0
		.amdhsa_float_denorm_mode_32 3
		.amdhsa_float_denorm_mode_16_64 3
		.amdhsa_dx10_clamp 1
		.amdhsa_ieee_mode 1
		.amdhsa_fp16_overflow 0
		.amdhsa_workgroup_processor_mode 1
		.amdhsa_memory_ordered 1
		.amdhsa_forward_progress 0
		.amdhsa_shared_vgpr_count 0
		.amdhsa_exception_fp_ieee_invalid_op 0
		.amdhsa_exception_fp_denorm_src 0
		.amdhsa_exception_fp_ieee_div_zero 0
		.amdhsa_exception_fp_ieee_overflow 0
		.amdhsa_exception_fp_ieee_underflow 0
		.amdhsa_exception_fp_ieee_inexact 0
		.amdhsa_exception_int_div_zero 0
	.end_amdhsa_kernel
	.text
.Lfunc_end0:
	.size	bluestein_single_fwd_len686_dim1_dp_op_CI_CI, .Lfunc_end0-bluestein_single_fwd_len686_dim1_dp_op_CI_CI
                                        ; -- End function
	.section	.AMDGPU.csdata,"",@progbits
; Kernel info:
; codeLenInByte = 16732
; NumSgprs: 32
; NumVgprs: 255
; ScratchSize: 0
; MemoryBound: 0
; FloatMode: 240
; IeeeMode: 1
; LDSByteSize: 10976 bytes/workgroup (compile time only)
; SGPRBlocks: 3
; VGPRBlocks: 31
; NumSGPRsForWavesPerEU: 32
; NumVGPRsForWavesPerEU: 255
; Occupancy: 4
; WaveLimiterHint : 1
; COMPUTE_PGM_RSRC2:SCRATCH_EN: 0
; COMPUTE_PGM_RSRC2:USER_SGPR: 6
; COMPUTE_PGM_RSRC2:TRAP_HANDLER: 0
; COMPUTE_PGM_RSRC2:TGID_X_EN: 1
; COMPUTE_PGM_RSRC2:TGID_Y_EN: 0
; COMPUTE_PGM_RSRC2:TGID_Z_EN: 0
; COMPUTE_PGM_RSRC2:TIDIG_COMP_CNT: 0
	.text
	.p2alignl 6, 3214868480
	.fill 48, 4, 3214868480
	.type	__hip_cuid_c1a2be48124ee0ad,@object ; @__hip_cuid_c1a2be48124ee0ad
	.section	.bss,"aw",@nobits
	.globl	__hip_cuid_c1a2be48124ee0ad
__hip_cuid_c1a2be48124ee0ad:
	.byte	0                               ; 0x0
	.size	__hip_cuid_c1a2be48124ee0ad, 1

	.ident	"AMD clang version 19.0.0git (https://github.com/RadeonOpenCompute/llvm-project roc-6.4.0 25133 c7fe45cf4b819c5991fe208aaa96edf142730f1d)"
	.section	".note.GNU-stack","",@progbits
	.addrsig
	.addrsig_sym __hip_cuid_c1a2be48124ee0ad
	.amdgpu_metadata
---
amdhsa.kernels:
  - .args:
      - .actual_access:  read_only
        .address_space:  global
        .offset:         0
        .size:           8
        .value_kind:     global_buffer
      - .actual_access:  read_only
        .address_space:  global
        .offset:         8
        .size:           8
        .value_kind:     global_buffer
      - .actual_access:  read_only
        .address_space:  global
        .offset:         16
        .size:           8
        .value_kind:     global_buffer
      - .actual_access:  read_only
        .address_space:  global
        .offset:         24
        .size:           8
        .value_kind:     global_buffer
      - .actual_access:  read_only
        .address_space:  global
        .offset:         32
        .size:           8
        .value_kind:     global_buffer
      - .offset:         40
        .size:           8
        .value_kind:     by_value
      - .address_space:  global
        .offset:         48
        .size:           8
        .value_kind:     global_buffer
      - .address_space:  global
        .offset:         56
        .size:           8
        .value_kind:     global_buffer
      - .address_space:  global
        .offset:         64
        .size:           8
        .value_kind:     global_buffer
      - .address_space:  global
        .offset:         72
        .size:           8
        .value_kind:     global_buffer
      - .offset:         80
        .size:           4
        .value_kind:     by_value
      - .address_space:  global
        .offset:         88
        .size:           8
        .value_kind:     global_buffer
      - .address_space:  global
        .offset:         96
        .size:           8
        .value_kind:     global_buffer
    .group_segment_fixed_size: 10976
    .kernarg_segment_align: 8
    .kernarg_segment_size: 104
    .language:       OpenCL C
    .language_version:
      - 2
      - 0
    .max_flat_workgroup_size: 49
    .name:           bluestein_single_fwd_len686_dim1_dp_op_CI_CI
    .private_segment_fixed_size: 0
    .sgpr_count:     32
    .sgpr_spill_count: 0
    .symbol:         bluestein_single_fwd_len686_dim1_dp_op_CI_CI.kd
    .uniform_work_group_size: 1
    .uses_dynamic_stack: false
    .vgpr_count:     255
    .vgpr_spill_count: 0
    .wavefront_size: 32
    .workgroup_processor_mode: 1
amdhsa.target:   amdgcn-amd-amdhsa--gfx1030
amdhsa.version:
  - 1
  - 2
...

	.end_amdgpu_metadata
